;; amdgpu-corpus repo=ROCm/rocFFT kind=compiled arch=gfx906 opt=O3
	.text
	.amdgcn_target "amdgcn-amd-amdhsa--gfx906"
	.amdhsa_code_object_version 6
	.protected	fft_rtc_fwd_len1530_factors_17_3_6_5_wgs_102_tpt_102_halfLds_half_ip_CI_unitstride_sbrr_C2R_dirReg ; -- Begin function fft_rtc_fwd_len1530_factors_17_3_6_5_wgs_102_tpt_102_halfLds_half_ip_CI_unitstride_sbrr_C2R_dirReg
	.globl	fft_rtc_fwd_len1530_factors_17_3_6_5_wgs_102_tpt_102_halfLds_half_ip_CI_unitstride_sbrr_C2R_dirReg
	.p2align	8
	.type	fft_rtc_fwd_len1530_factors_17_3_6_5_wgs_102_tpt_102_halfLds_half_ip_CI_unitstride_sbrr_C2R_dirReg,@function
fft_rtc_fwd_len1530_factors_17_3_6_5_wgs_102_tpt_102_halfLds_half_ip_CI_unitstride_sbrr_C2R_dirReg: ; @fft_rtc_fwd_len1530_factors_17_3_6_5_wgs_102_tpt_102_halfLds_half_ip_CI_unitstride_sbrr_C2R_dirReg
; %bb.0:
	s_load_dwordx2 s[12:13], s[4:5], 0x50
	s_load_dwordx4 s[8:11], s[4:5], 0x0
	s_load_dwordx2 s[2:3], s[4:5], 0x18
	v_mul_u32_u24_e32 v1, 0x283, v0
	v_add_u32_sdwa v5, s6, v1 dst_sel:DWORD dst_unused:UNUSED_PAD src0_sel:DWORD src1_sel:WORD_1
	v_mov_b32_e32 v3, 0
	s_waitcnt lgkmcnt(0)
	v_cmp_lt_u64_e64 s[0:1], s[10:11], 2
	v_mov_b32_e32 v1, 0
	v_mov_b32_e32 v6, v3
	s_and_b64 vcc, exec, s[0:1]
	v_mov_b32_e32 v2, 0
	s_cbranch_vccnz .LBB0_8
; %bb.1:
	s_load_dwordx2 s[0:1], s[4:5], 0x10
	s_add_u32 s6, s2, 8
	s_addc_u32 s7, s3, 0
	v_mov_b32_e32 v1, 0
	v_mov_b32_e32 v2, 0
	s_waitcnt lgkmcnt(0)
	s_add_u32 s14, s0, 8
	s_addc_u32 s15, s1, 0
	s_mov_b64 s[16:17], 1
.LBB0_2:                                ; =>This Inner Loop Header: Depth=1
	s_load_dwordx2 s[18:19], s[14:15], 0x0
                                        ; implicit-def: $vgpr7_vgpr8
	s_waitcnt lgkmcnt(0)
	v_or_b32_e32 v4, s19, v6
	v_cmp_ne_u64_e32 vcc, 0, v[3:4]
	s_and_saveexec_b64 s[0:1], vcc
	s_xor_b64 s[20:21], exec, s[0:1]
	s_cbranch_execz .LBB0_4
; %bb.3:                                ;   in Loop: Header=BB0_2 Depth=1
	v_cvt_f32_u32_e32 v4, s18
	v_cvt_f32_u32_e32 v7, s19
	s_sub_u32 s0, 0, s18
	s_subb_u32 s1, 0, s19
	v_mac_f32_e32 v4, 0x4f800000, v7
	v_rcp_f32_e32 v4, v4
	v_mul_f32_e32 v4, 0x5f7ffffc, v4
	v_mul_f32_e32 v7, 0x2f800000, v4
	v_trunc_f32_e32 v7, v7
	v_mac_f32_e32 v4, 0xcf800000, v7
	v_cvt_u32_f32_e32 v7, v7
	v_cvt_u32_f32_e32 v4, v4
	v_mul_lo_u32 v8, s0, v7
	v_mul_hi_u32 v9, s0, v4
	v_mul_lo_u32 v11, s1, v4
	v_mul_lo_u32 v10, s0, v4
	v_add_u32_e32 v8, v9, v8
	v_add_u32_e32 v8, v8, v11
	v_mul_hi_u32 v9, v4, v10
	v_mul_lo_u32 v11, v4, v8
	v_mul_hi_u32 v13, v4, v8
	v_mul_hi_u32 v12, v7, v10
	v_mul_lo_u32 v10, v7, v10
	v_mul_hi_u32 v14, v7, v8
	v_add_co_u32_e32 v9, vcc, v9, v11
	v_addc_co_u32_e32 v11, vcc, 0, v13, vcc
	v_mul_lo_u32 v8, v7, v8
	v_add_co_u32_e32 v9, vcc, v9, v10
	v_addc_co_u32_e32 v9, vcc, v11, v12, vcc
	v_addc_co_u32_e32 v10, vcc, 0, v14, vcc
	v_add_co_u32_e32 v8, vcc, v9, v8
	v_addc_co_u32_e32 v9, vcc, 0, v10, vcc
	v_add_co_u32_e32 v4, vcc, v4, v8
	v_addc_co_u32_e32 v7, vcc, v7, v9, vcc
	v_mul_lo_u32 v8, s0, v7
	v_mul_hi_u32 v9, s0, v4
	v_mul_lo_u32 v10, s1, v4
	v_mul_lo_u32 v11, s0, v4
	v_add_u32_e32 v8, v9, v8
	v_add_u32_e32 v8, v8, v10
	v_mul_lo_u32 v12, v4, v8
	v_mul_hi_u32 v13, v4, v11
	v_mul_hi_u32 v14, v4, v8
	;; [unrolled: 1-line block ×3, first 2 shown]
	v_mul_lo_u32 v11, v7, v11
	v_mul_hi_u32 v9, v7, v8
	v_add_co_u32_e32 v12, vcc, v13, v12
	v_addc_co_u32_e32 v13, vcc, 0, v14, vcc
	v_mul_lo_u32 v8, v7, v8
	v_add_co_u32_e32 v11, vcc, v12, v11
	v_addc_co_u32_e32 v10, vcc, v13, v10, vcc
	v_addc_co_u32_e32 v9, vcc, 0, v9, vcc
	v_add_co_u32_e32 v8, vcc, v10, v8
	v_addc_co_u32_e32 v9, vcc, 0, v9, vcc
	v_add_co_u32_e32 v4, vcc, v4, v8
	v_addc_co_u32_e32 v9, vcc, v7, v9, vcc
	v_mad_u64_u32 v[7:8], s[0:1], v5, v9, 0
	v_mul_hi_u32 v10, v5, v4
	v_add_co_u32_e32 v11, vcc, v10, v7
	v_addc_co_u32_e32 v12, vcc, 0, v8, vcc
	v_mad_u64_u32 v[7:8], s[0:1], v6, v4, 0
	v_mad_u64_u32 v[9:10], s[0:1], v6, v9, 0
	v_add_co_u32_e32 v4, vcc, v11, v7
	v_addc_co_u32_e32 v4, vcc, v12, v8, vcc
	v_addc_co_u32_e32 v7, vcc, 0, v10, vcc
	v_add_co_u32_e32 v4, vcc, v4, v9
	v_addc_co_u32_e32 v9, vcc, 0, v7, vcc
	v_mul_lo_u32 v10, s19, v4
	v_mul_lo_u32 v11, s18, v9
	v_mad_u64_u32 v[7:8], s[0:1], s18, v4, 0
	v_add3_u32 v8, v8, v11, v10
	v_sub_u32_e32 v10, v6, v8
	v_mov_b32_e32 v11, s19
	v_sub_co_u32_e32 v7, vcc, v5, v7
	v_subb_co_u32_e64 v10, s[0:1], v10, v11, vcc
	v_subrev_co_u32_e64 v11, s[0:1], s18, v7
	v_subbrev_co_u32_e64 v10, s[0:1], 0, v10, s[0:1]
	v_cmp_le_u32_e64 s[0:1], s19, v10
	v_cndmask_b32_e64 v12, 0, -1, s[0:1]
	v_cmp_le_u32_e64 s[0:1], s18, v11
	v_cndmask_b32_e64 v11, 0, -1, s[0:1]
	v_cmp_eq_u32_e64 s[0:1], s19, v10
	v_cndmask_b32_e64 v10, v12, v11, s[0:1]
	v_add_co_u32_e64 v11, s[0:1], 2, v4
	v_addc_co_u32_e64 v12, s[0:1], 0, v9, s[0:1]
	v_add_co_u32_e64 v13, s[0:1], 1, v4
	v_addc_co_u32_e64 v14, s[0:1], 0, v9, s[0:1]
	v_subb_co_u32_e32 v8, vcc, v6, v8, vcc
	v_cmp_ne_u32_e64 s[0:1], 0, v10
	v_cmp_le_u32_e32 vcc, s19, v8
	v_cndmask_b32_e64 v10, v14, v12, s[0:1]
	v_cndmask_b32_e64 v12, 0, -1, vcc
	v_cmp_le_u32_e32 vcc, s18, v7
	v_cndmask_b32_e64 v7, 0, -1, vcc
	v_cmp_eq_u32_e32 vcc, s19, v8
	v_cndmask_b32_e32 v7, v12, v7, vcc
	v_cmp_ne_u32_e32 vcc, 0, v7
	v_cndmask_b32_e64 v7, v13, v11, s[0:1]
	v_cndmask_b32_e32 v8, v9, v10, vcc
	v_cndmask_b32_e32 v7, v4, v7, vcc
.LBB0_4:                                ;   in Loop: Header=BB0_2 Depth=1
	s_andn2_saveexec_b64 s[0:1], s[20:21]
	s_cbranch_execz .LBB0_6
; %bb.5:                                ;   in Loop: Header=BB0_2 Depth=1
	v_cvt_f32_u32_e32 v4, s18
	s_sub_i32 s20, 0, s18
	v_rcp_iflag_f32_e32 v4, v4
	v_mul_f32_e32 v4, 0x4f7ffffe, v4
	v_cvt_u32_f32_e32 v4, v4
	v_mul_lo_u32 v7, s20, v4
	v_mul_hi_u32 v7, v4, v7
	v_add_u32_e32 v4, v4, v7
	v_mul_hi_u32 v4, v5, v4
	v_mul_lo_u32 v7, v4, s18
	v_add_u32_e32 v8, 1, v4
	v_sub_u32_e32 v7, v5, v7
	v_subrev_u32_e32 v9, s18, v7
	v_cmp_le_u32_e32 vcc, s18, v7
	v_cndmask_b32_e32 v7, v7, v9, vcc
	v_cndmask_b32_e32 v4, v4, v8, vcc
	v_add_u32_e32 v8, 1, v4
	v_cmp_le_u32_e32 vcc, s18, v7
	v_cndmask_b32_e32 v7, v4, v8, vcc
	v_mov_b32_e32 v8, v3
.LBB0_6:                                ;   in Loop: Header=BB0_2 Depth=1
	s_or_b64 exec, exec, s[0:1]
	v_mul_lo_u32 v4, v8, s18
	v_mul_lo_u32 v11, v7, s19
	v_mad_u64_u32 v[9:10], s[0:1], v7, s18, 0
	s_load_dwordx2 s[0:1], s[6:7], 0x0
	s_add_u32 s16, s16, 1
	v_add3_u32 v4, v10, v11, v4
	v_sub_co_u32_e32 v5, vcc, v5, v9
	v_subb_co_u32_e32 v4, vcc, v6, v4, vcc
	s_waitcnt lgkmcnt(0)
	v_mul_lo_u32 v4, s0, v4
	v_mul_lo_u32 v6, s1, v5
	v_mad_u64_u32 v[1:2], s[0:1], s0, v5, v[1:2]
	s_addc_u32 s17, s17, 0
	s_add_u32 s6, s6, 8
	v_add3_u32 v2, v6, v2, v4
	v_mov_b32_e32 v4, s10
	v_mov_b32_e32 v5, s11
	s_addc_u32 s7, s7, 0
	v_cmp_ge_u64_e32 vcc, s[16:17], v[4:5]
	s_add_u32 s14, s14, 8
	s_addc_u32 s15, s15, 0
	s_cbranch_vccnz .LBB0_9
; %bb.7:                                ;   in Loop: Header=BB0_2 Depth=1
	v_mov_b32_e32 v5, v7
	v_mov_b32_e32 v6, v8
	s_branch .LBB0_2
.LBB0_8:
	v_mov_b32_e32 v8, v6
	v_mov_b32_e32 v7, v5
.LBB0_9:
	s_lshl_b64 s[0:1], s[10:11], 3
	s_add_u32 s0, s2, s0
	s_addc_u32 s1, s3, s1
	s_load_dwordx2 s[2:3], s[0:1], 0x0
	s_load_dwordx2 s[6:7], s[4:5], 0x20
	s_waitcnt lgkmcnt(0)
	v_mad_u64_u32 v[1:2], s[0:1], s2, v7, v[1:2]
	v_mul_lo_u32 v3, s2, v8
	v_mul_lo_u32 v4, s3, v7
	s_mov_b32 s0, 0x2828283
	v_mul_hi_u32 v5, v0, s0
	v_cmp_gt_u64_e64 s[0:1], s[6:7], v[7:8]
	v_add3_u32 v2, v4, v2, v3
	v_lshlrev_b64 v[2:3], 2, v[1:2]
	v_mul_u32_u24_e32 v4, 0x66, v5
	v_sub_u32_e32 v0, v0, v4
	s_and_saveexec_b64 s[2:3], s[0:1]
	s_cbranch_execz .LBB0_13
; %bb.10:
	v_mov_b32_e32 v1, 0
	v_mov_b32_e32 v4, s13
	v_add_co_u32_e32 v5, vcc, s12, v2
	v_lshlrev_b64 v[6:7], 2, v[0:1]
	v_addc_co_u32_e32 v4, vcc, v4, v3, vcc
	v_add_co_u32_e32 v6, vcc, v5, v6
	v_addc_co_u32_e32 v7, vcc, v4, v7, vcc
	s_movk_i32 s4, 0x1000
	v_add_co_u32_e32 v8, vcc, s4, v6
	global_load_dword v10, v[6:7], off
	global_load_dword v11, v[6:7], off offset:408
	global_load_dword v12, v[6:7], off offset:816
	;; [unrolled: 1-line block ×7, first 2 shown]
	v_addc_co_u32_e32 v9, vcc, 0, v7, vcc
	global_load_dword v18, v[6:7], off offset:3264
	global_load_dword v19, v[6:7], off offset:3672
	;; [unrolled: 1-line block ×7, first 2 shown]
	s_movk_i32 s4, 0x65
	v_lshl_add_u32 v6, v0, 2, 0
	v_cmp_eq_u32_e32 vcc, s4, v0
	v_add_u32_e32 v7, 0x200, v6
	v_add_u32_e32 v8, 0x400, v6
	v_add_u32_e32 v9, 0x800, v6
	v_add_u32_e32 v25, 0xc00, v6
	v_add_u32_e32 v26, 0xe00, v6
	v_add_u32_e32 v27, 0x1200, v6
	s_waitcnt vmcnt(13)
	ds_write2_b32 v6, v10, v11 offset1:102
	s_waitcnt vmcnt(11)
	ds_write2_b32 v7, v12, v13 offset0:76 offset1:178
	s_waitcnt vmcnt(9)
	ds_write2_b32 v8, v14, v15 offset0:152 offset1:254
	;; [unrolled: 2-line block ×6, first 2 shown]
	s_waitcnt vmcnt(0)
	ds_write_b32 v6, v24 offset:5712
	s_and_saveexec_b64 s[4:5], vcc
	s_cbranch_execz .LBB0_12
; %bb.11:
	v_add_co_u32_e32 v5, vcc, 0x1000, v5
	v_addc_co_u32_e32 v6, vcc, 0, v4, vcc
	global_load_dword v0, v[5:6], off offset:2024
	s_waitcnt vmcnt(0)
	ds_write_b32 v1, v0 offset:6120
	v_mov_b32_e32 v0, 0x65
.LBB0_12:
	s_or_b64 exec, exec, s[4:5]
.LBB0_13:
	s_or_b64 exec, exec, s[2:3]
	v_lshlrev_b32_e32 v4, 2, v0
	v_add_u32_e32 v25, 0, v4
	s_waitcnt lgkmcnt(0)
	s_barrier
	v_sub_u32_e32 v7, 0, v4
	ds_read_u16 v10, v25
	ds_read_u16 v11, v7 offset:6120
	s_add_u32 s4, s8, 0x17a4
	s_addc_u32 s5, s9, 0
	v_cmp_ne_u32_e32 vcc, 0, v0
                                        ; implicit-def: $vgpr5_vgpr6
	s_waitcnt lgkmcnt(0)
	v_add_f16_e32 v8, v11, v10
	v_sub_f16_e32 v9, v10, v11
	s_and_saveexec_b64 s[2:3], vcc
	s_xor_b64 s[2:3], exec, s[2:3]
	s_cbranch_execz .LBB0_15
; %bb.14:
	v_mov_b32_e32 v1, 0
	v_lshlrev_b64 v[5:6], 2, v[0:1]
	v_mov_b32_e32 v8, s5
	v_add_co_u32_e32 v5, vcc, s4, v5
	v_addc_co_u32_e32 v6, vcc, v8, v6, vcc
	global_load_dword v5, v[5:6], off
	ds_read_u16 v6, v7 offset:6122
	ds_read_u16 v8, v25 offset:2
	v_add_f16_e32 v9, v11, v10
	v_sub_f16_e32 v10, v10, v11
	s_waitcnt lgkmcnt(0)
	v_add_f16_e32 v11, v6, v8
	v_sub_f16_e32 v6, v8, v6
	s_waitcnt vmcnt(0)
	v_lshrrev_b32_e32 v8, 16, v5
	v_fma_f16 v12, v10, v8, v9
	v_fma_f16 v13, v11, v8, v6
	v_fma_f16 v14, -v10, v8, v9
	v_fma_f16 v6, v11, v8, -v6
	v_fma_f16 v8, -v5, v11, v12
	v_fma_f16 v9, v10, v5, v13
	v_fma_f16 v11, v5, v11, v14
	;; [unrolled: 1-line block ×3, first 2 shown]
	v_pack_b32_f16 v5, v11, v5
	ds_write_b32 v7, v5 offset:6120
	v_mov_b32_e32 v6, v1
	v_mov_b32_e32 v5, v0
.LBB0_15:
	s_andn2_saveexec_b64 s[2:3], s[2:3]
	s_cbranch_execz .LBB0_17
; %bb.16:
	v_mov_b32_e32 v1, 0
	ds_read_b32 v5, v1 offset:3060
	s_mov_b32 s6, 0xc0004000
	s_waitcnt lgkmcnt(0)
	v_pk_mul_f16 v10, v5, s6
	v_mov_b32_e32 v5, 0
	v_mov_b32_e32 v6, 0
	ds_write_b32 v1, v10 offset:3060
.LBB0_17:
	s_or_b64 exec, exec, s[2:3]
	v_lshlrev_b64 v[5:6], 2, v[5:6]
	v_mov_b32_e32 v1, s5
	v_add_co_u32_e32 v5, vcc, s4, v5
	v_addc_co_u32_e32 v6, vcc, v1, v6, vcc
	global_load_dword v1, v[5:6], off offset:408
	global_load_dword v10, v[5:6], off offset:816
	;; [unrolled: 1-line block ×4, first 2 shown]
	s_mov_b32 s2, 0x5040100
	v_perm_b32 v8, v9, v8, s2
	ds_write_b32 v25, v8
	ds_read_b32 v8, v25 offset:408
	ds_read_b32 v9, v7 offset:5712
	global_load_dword v13, v[5:6], off offset:2040
	global_load_dword v14, v[5:6], off offset:2448
	v_cmp_gt_u32_e32 vcc, 51, v0
	s_waitcnt lgkmcnt(0)
	v_add_f16_e32 v15, v8, v9
	v_add_f16_sdwa v16, v9, v8 dst_sel:DWORD dst_unused:UNUSED_PAD src0_sel:WORD_1 src1_sel:WORD_1
	v_sub_f16_e32 v17, v8, v9
	v_sub_f16_sdwa v8, v8, v9 dst_sel:DWORD dst_unused:UNUSED_PAD src0_sel:WORD_1 src1_sel:WORD_1
	s_waitcnt vmcnt(5)
	v_lshrrev_b32_e32 v9, 16, v1
	v_fma_f16 v18, v17, v9, v15
	v_fma_f16 v19, v16, v9, v8
	v_fma_f16 v15, -v17, v9, v15
	v_fma_f16 v8, v16, v9, -v8
	v_fma_f16 v9, -v1, v16, v18
	v_fma_f16 v18, v17, v1, v19
	v_fma_f16 v15, v1, v16, v15
	v_fma_f16 v1, v17, v1, v8
	v_pack_b32_f16 v8, v9, v18
	v_pack_b32_f16 v1, v15, v1
	ds_write_b32 v25, v8 offset:408
	ds_write_b32 v7, v1 offset:5712
	ds_read_b32 v1, v25 offset:816
	ds_read_b32 v8, v7 offset:5304
	s_waitcnt vmcnt(4)
	v_lshrrev_b32_e32 v9, 16, v10
	s_waitcnt lgkmcnt(0)
	v_add_f16_e32 v15, v1, v8
	v_add_f16_sdwa v16, v8, v1 dst_sel:DWORD dst_unused:UNUSED_PAD src0_sel:WORD_1 src1_sel:WORD_1
	v_sub_f16_e32 v17, v1, v8
	v_sub_f16_sdwa v1, v1, v8 dst_sel:DWORD dst_unused:UNUSED_PAD src0_sel:WORD_1 src1_sel:WORD_1
	v_fma_f16 v8, v17, v9, v15
	v_fma_f16 v18, v16, v9, v1
	v_fma_f16 v15, -v17, v9, v15
	v_fma_f16 v1, v16, v9, -v1
	v_fma_f16 v8, -v10, v16, v8
	v_fma_f16 v9, v17, v10, v18
	v_fma_f16 v15, v10, v16, v15
	v_fma_f16 v1, v17, v10, v1
	v_pack_b32_f16 v8, v8, v9
	v_pack_b32_f16 v1, v15, v1
	ds_write_b32 v25, v8 offset:816
	ds_write_b32 v7, v1 offset:5304
	ds_read_b32 v1, v25 offset:1224
	ds_read_b32 v8, v7 offset:4896
	s_waitcnt vmcnt(3)
	v_lshrrev_b32_e32 v9, 16, v11
	s_waitcnt lgkmcnt(0)
	v_add_f16_e32 v10, v1, v8
	v_add_f16_sdwa v15, v8, v1 dst_sel:DWORD dst_unused:UNUSED_PAD src0_sel:WORD_1 src1_sel:WORD_1
	v_sub_f16_e32 v16, v1, v8
	v_sub_f16_sdwa v1, v1, v8 dst_sel:DWORD dst_unused:UNUSED_PAD src0_sel:WORD_1 src1_sel:WORD_1
	;; [unrolled: 21-line block ×5, first 2 shown]
	v_fma_f16 v8, v12, v9, v10
	v_fma_f16 v13, v11, v9, v1
	v_fma_f16 v10, -v12, v9, v10
	v_fma_f16 v1, v11, v9, -v1
	v_fma_f16 v8, -v14, v11, v8
	v_fma_f16 v9, v12, v14, v13
	v_fma_f16 v10, v14, v11, v10
	;; [unrolled: 1-line block ×3, first 2 shown]
	v_pack_b32_f16 v8, v8, v9
	v_pack_b32_f16 v1, v10, v1
	ds_write_b32 v25, v8 offset:2448
	ds_write_b32 v7, v1 offset:3672
	s_and_saveexec_b64 s[2:3], vcc
	s_cbranch_execz .LBB0_19
; %bb.18:
	global_load_dword v1, v[5:6], off offset:2856
	ds_read_b32 v5, v25 offset:2856
	ds_read_b32 v6, v7 offset:3264
	s_waitcnt lgkmcnt(0)
	v_add_f16_e32 v8, v5, v6
	v_add_f16_sdwa v9, v6, v5 dst_sel:DWORD dst_unused:UNUSED_PAD src0_sel:WORD_1 src1_sel:WORD_1
	v_sub_f16_e32 v10, v5, v6
	v_sub_f16_sdwa v5, v5, v6 dst_sel:DWORD dst_unused:UNUSED_PAD src0_sel:WORD_1 src1_sel:WORD_1
	s_waitcnt vmcnt(0)
	v_lshrrev_b32_e32 v6, 16, v1
	v_fma_f16 v11, v10, v6, v8
	v_fma_f16 v12, v9, v6, v5
	v_fma_f16 v8, -v10, v6, v8
	v_fma_f16 v5, v9, v6, -v5
	v_fma_f16 v6, -v1, v9, v11
	v_fma_f16 v11, v10, v1, v12
	v_fma_f16 v8, v1, v9, v8
	;; [unrolled: 1-line block ×3, first 2 shown]
	v_pack_b32_f16 v5, v6, v11
	v_pack_b32_f16 v1, v8, v1
	ds_write_b32 v25, v5 offset:2856
	ds_write_b32 v7, v1 offset:3264
.LBB0_19:
	s_or_b64 exec, exec, s[2:3]
	s_waitcnt lgkmcnt(0)
	s_barrier
	s_barrier
	ds_read2_b32 v[9:10], v25 offset1:90
	ds_read_b32 v35, v25 offset:5760
	v_add_u32_e32 v23, 0x1200, v25
	v_add_u32_e32 v24, 0x200, v25
	ds_read2_b32 v[6:7], v23 offset0:108 offset1:198
	ds_read2_b32 v[19:20], v24 offset0:52 offset1:142
	s_waitcnt lgkmcnt(2)
	v_pk_add_f16 v31, v10, v35 neg_lo:[0,1] neg_hi:[0,1]
	s_mov_b32 s24, 0xb5c8
	v_pk_add_f16 v33, v35, v10
	s_movk_i32 s6, 0x3b76
	v_mul_f16_sdwa v56, v31, s24 dst_sel:DWORD dst_unused:UNUSED_PAD src0_sel:WORD_1 src1_sel:DWORD
	s_mov_b32 s30, 0xb964
	s_waitcnt lgkmcnt(0)
	v_pk_add_f16 v32, v19, v7 neg_lo:[0,1] neg_hi:[0,1]
	v_fma_f16 v1, v33, s6, v56
	v_lshrrev_b32_e32 v42, 16, v33
	s_movk_i32 s7, 0x39e9
	v_mul_f16_e32 v59, 0xb964, v31
	v_pk_add_f16 v36, v7, v19
	v_mul_f16_sdwa v57, v32, s30 dst_sel:DWORD dst_unused:UNUSED_PAD src0_sel:WORD_1 src1_sel:DWORD
	v_add_f16_e32 v1, v9, v1
	v_fma_f16 v5, v42, s7, -v59
	v_fma_f16 v8, v36, s7, v57
	v_lshrrev_b32_e32 v44, 16, v36
	s_movk_i32 s10, 0x2de8
	v_mul_f16_e32 v61, 0xbbf7, v32
	v_pk_add_f16 v34, v20, v6 neg_lo:[0,1] neg_hi:[0,1]
	s_mov_b32 s25, 0xbb29
	v_add_f16_sdwa v5, v9, v5 dst_sel:DWORD dst_unused:UNUSED_PAD src0_sel:WORD_1 src1_sel:DWORD
	v_add_f16_e32 v1, v8, v1
	v_fma_f16 v8, v44, s10, -v61
	v_pk_add_f16 v37, v6, v20
	s_movk_i32 s11, 0x3722
	v_mul_f16_sdwa v58, v34, s25 dst_sel:DWORD dst_unused:UNUSED_PAD src0_sel:WORD_1 src1_sel:DWORD
	v_add_f16_e32 v5, v8, v5
	v_fma_f16 v8, v37, s11, v58
	v_add_f16_e32 v1, v8, v1
	v_add_u32_e32 v8, 0x1000, v25
	v_add_u32_e32 v28, 0x400, v25
	ds_read2_b32 v[11:12], v8 offset0:56 offset1:146
	ds_read2_b32 v[21:22], v28 offset0:104 offset1:194
	v_add_u32_e32 v30, 0x800, v25
	v_add_u32_e32 v29, 0xc00, v25
	ds_read2_b32 v[15:16], v30 offset0:28 offset1:118
	ds_read2_b32 v[13:14], v29 offset0:132 offset1:222
	v_lshrrev_b32_e32 v47, 16, v37
	s_mov_b32 s14, 0xb8d2
	v_mul_f16_e32 v64, 0xba62, v34
	s_mov_b32 s26, 0xbbf7
	s_waitcnt lgkmcnt(2)
	v_pk_add_f16 v38, v21, v12 neg_lo:[0,1] neg_hi:[0,1]
	v_fma_f16 v8, v47, s14, -v64
	v_pk_add_f16 v40, v12, v21
	v_mul_f16_sdwa v60, v38, s26 dst_sel:DWORD dst_unused:UNUSED_PAD src0_sel:WORD_1 src1_sel:DWORD
	v_add_f16_e32 v5, v8, v5
	v_fma_f16 v8, v40, s10, v60
	s_mov_b32 s17, 0xbbdd
	v_lshrrev_b32_e32 v51, 16, v40
	v_mul_f16_e32 v66, 0xb1e1, v38
	s_mov_b32 s15, 0xbbb2
	v_pk_add_f16 v39, v22, v11 neg_lo:[0,1] neg_hi:[0,1]
	v_add_u32_e32 v27, 0xa00, v25
	v_add_f16_e32 v1, v8, v1
	v_fma_f16 v8, v51, s17, -v66
	s_mov_b32 s16, 0xb461
	v_pk_add_f16 v41, v11, v22
	v_mul_f16_sdwa v62, v39, s15 dst_sel:DWORD dst_unused:UNUSED_PAD src0_sel:WORD_1 src1_sel:DWORD
	ds_read2_b32 v[17:18], v27 offset0:80 offset1:170
	v_add_f16_e32 v5, v8, v5
	v_fma_f16 v8, v41, s16, v62
	s_mov_b32 s19, 0xbacd
	v_lshrrev_b32_e32 v52, 16, v41
	v_mul_f16_e32 v69, 0x3836, v39
	s_mov_b32 s18, 0xba62
	s_waitcnt lgkmcnt(1)
	v_pk_add_f16 v43, v15, v14 neg_lo:[0,1] neg_hi:[0,1]
	v_add_f16_e32 v1, v8, v1
	v_fma_f16 v8, v52, s19, -v69
	v_pk_add_f16 v46, v14, v15
	v_mul_f16_sdwa v65, v43, s18 dst_sel:DWORD dst_unused:UNUSED_PAD src0_sel:WORD_1 src1_sel:DWORD
	v_add_f16_e32 v5, v8, v5
	v_fma_f16 v8, v46, s14, v65
	v_lshrrev_b32_e32 v53, 16, v46
	v_mul_f16_e32 v71, 0x3bb2, v43
	s_mov_b32 s20, 0xb836
	v_pk_add_f16 v45, v16, v13 neg_lo:[0,1] neg_hi:[0,1]
	v_add_f16_e32 v1, v8, v1
	v_fma_f16 v8, v53, s16, -v71
	v_pk_add_f16 v48, v13, v16
	v_mul_f16_sdwa v68, v45, s20 dst_sel:DWORD dst_unused:UNUSED_PAD src0_sel:WORD_1 src1_sel:DWORD
	v_add_f16_e32 v5, v8, v5
	v_fma_f16 v8, v48, s19, v68
	v_lshrrev_b32_e32 v54, 16, v48
	v_mul_f16_e32 v72, 0x3b29, v45
	s_waitcnt lgkmcnt(0)
	v_pk_add_f16 v50, v18, v17
	v_pk_add_f16 v49, v17, v18 neg_lo:[0,1] neg_hi:[0,1]
	v_add_f16_e32 v8, v8, v1
	v_fma_f16 v1, v54, s11, -v72
	v_lshrrev_b32_e32 v55, 16, v50
	v_mul_f16_e32 v73, 0x35c8, v49
	v_add_f16_e32 v1, v1, v5
	v_fma_f16 v5, v55, s6, -v73
	s_mov_b32 s2, 0x3b7639e9
	v_add_f16_e32 v1, v5, v1
	s_mov_b32 s3, 0xb964b5c8
	v_pk_mul_f16 v5, v33, s2
	s_mov_b32 s2, 0x39e92de8
	v_pk_fma_f16 v74, v31, s3, v5 op_sel:[0,0,1] op_sel_hi:[1,1,0] neg_lo:[1,0,0] neg_hi:[1,0,0]
	v_pk_fma_f16 v75, v31, s3, v5 op_sel:[0,0,1] op_sel_hi:[1,1,0]
	s_mov_b32 s3, 0xbbf7b964
	v_pk_mul_f16 v5, v36, s2
	s_mov_b32 s2, 0x3722b8d2
	v_pk_fma_f16 v76, v32, s3, v5 op_sel:[0,0,1] op_sel_hi:[1,1,0] neg_lo:[1,0,0] neg_hi:[1,0,0]
	v_pk_fma_f16 v77, v32, s3, v5 op_sel:[0,0,1] op_sel_hi:[1,1,0]
	;; [unrolled: 5-line block ×4, first 2 shown]
	s_mov_b32 s3, 0x3836bbb2
	v_pk_mul_f16 v5, v41, s2
	s_mov_b32 s2, 0xb8d2b461
	s_mov_b32 s21, 0xb1e1
	v_pk_fma_f16 v83, v39, s3, v5 op_sel:[0,0,1] op_sel_hi:[1,1,0] neg_lo:[1,0,0] neg_hi:[1,0,0]
	v_pk_fma_f16 v84, v39, s3, v5 op_sel:[0,0,1] op_sel_hi:[1,1,0]
	s_mov_b32 s3, 0x3bb2ba62
	v_pk_mul_f16 v5, v46, s2
	s_mov_b32 s2, 0xbacd3722
	v_pk_fma_f16 v85, v43, s3, v5 op_sel:[0,0,1] op_sel_hi:[1,1,0] neg_lo:[1,0,0] neg_hi:[1,0,0]
	v_pk_fma_f16 v86, v43, s3, v5 op_sel:[0,0,1] op_sel_hi:[1,1,0]
	s_mov_b32 s3, 0x3b29b836
	v_pk_mul_f16 v5, v48, s2
	v_mul_f16_sdwa v78, v49, s21 dst_sel:DWORD dst_unused:UNUSED_PAD src0_sel:WORD_1 src1_sel:DWORD
	v_pk_fma_f16 v87, v45, s3, v5 op_sel:[0,0,1] op_sel_hi:[1,1,0] neg_lo:[1,0,0] neg_hi:[1,0,0]
	v_pk_fma_f16 v88, v45, s3, v5 op_sel:[0,0,1] op_sel_hi:[1,1,0]
	v_fma_f16 v5, v50, s17, v78
	v_add_f16_e32 v5, v5, v8
	v_add_f16_sdwa v8, v9, v74 dst_sel:DWORD dst_unused:UNUSED_PAD src0_sel:WORD_1 src1_sel:DWORD
	v_add_f16_e32 v8, v76, v8
	v_add_f16_e32 v8, v79, v8
	;; [unrolled: 1-line block ×3, first 2 shown]
	s_mov_b32 s2, 0xbbdd3b76
	v_add_f16_e32 v8, v83, v8
	s_mov_b32 s3, 0x35c8b1e1
	v_add_f16_e32 v8, v85, v8
	v_pk_mul_f16 v63, v50, s2
	v_add_f16_e32 v8, v87, v8
	v_pk_fma_f16 v89, v49, s3, v63 op_sel:[0,0,1] op_sel_hi:[1,1,0] neg_lo:[1,0,0] neg_hi:[1,0,0]
	v_add_f16_e32 v26, v89, v8
	v_add_f16_sdwa v8, v9, v75 dst_sel:DWORD dst_unused:UNUSED_PAD src0_sel:DWORD src1_sel:WORD_1
	v_add_f16_sdwa v8, v77, v8 dst_sel:DWORD dst_unused:UNUSED_PAD src0_sel:WORD_1 src1_sel:DWORD
	v_add_f16_sdwa v8, v80, v8 dst_sel:DWORD dst_unused:UNUSED_PAD src0_sel:WORD_1 src1_sel:DWORD
	;; [unrolled: 1-line block ×5, first 2 shown]
	v_pk_fma_f16 v90, v49, s3, v63 op_sel:[0,0,1] op_sel_hi:[1,1,0]
	v_add_f16_sdwa v8, v88, v8 dst_sel:DWORD dst_unused:UNUSED_PAD src0_sel:WORD_1 src1_sel:DWORD
	s_movk_i32 s2, 0x5a
	s_movk_i32 s28, 0x3836
	;; [unrolled: 1-line block ×5, first 2 shown]
	v_cmp_gt_u32_e64 s[2:3], s2, v0
	v_add_f16_sdwa v8, v90, v8 dst_sel:DWORD dst_unused:UNUSED_PAD src0_sel:WORD_1 src1_sel:DWORD
	s_barrier
	s_and_saveexec_b64 s[4:5], s[2:3]
	s_cbranch_execz .LBB0_21
; %bb.20:
	v_mul_f16_e32 v91, 0xb836, v31
	v_fma_f16 v63, v42, s19, v91
	v_mul_f16_e32 v92, 0x3b29, v32
	v_add_f16_sdwa v63, v9, v63 dst_sel:DWORD dst_unused:UNUSED_PAD src0_sel:WORD_1 src1_sel:DWORD
	v_fma_f16 v67, v44, s11, v92
	v_mul_f16_e32 v93, 0xbbf7, v34
	v_add_f16_e32 v63, v67, v63
	v_fma_f16 v67, v47, s10, v93
	v_mul_f16_e32 v94, 0x3a62, v38
	v_add_f16_e32 v63, v67, v63
	;; [unrolled: 3-line block ×6, first 2 shown]
	v_fma_f16 v67, v55, s16, v98
	v_mul_f16_sdwa v99, v31, s20 dst_sel:DWORD dst_unused:UNUSED_PAD src0_sel:WORD_1 src1_sel:DWORD
	v_add_f16_e32 v63, v67, v63
	v_fma_f16 v67, v33, s19, -v99
	v_mul_f16_sdwa v100, v32, s22 dst_sel:DWORD dst_unused:UNUSED_PAD src0_sel:WORD_1 src1_sel:DWORD
	s_movk_i32 s29, 0x3a62
	v_add_f16_e32 v67, v9, v67
	v_fma_f16 v70, v36, s11, -v100
	v_mul_f16_sdwa v101, v34, s26 dst_sel:DWORD dst_unused:UNUSED_PAD src0_sel:WORD_1 src1_sel:DWORD
	v_add_f16_e32 v67, v70, v67
	v_fma_f16 v70, v37, s10, -v101
	v_mul_f16_sdwa v102, v38, s29 dst_sel:DWORD dst_unused:UNUSED_PAD src0_sel:WORD_1 src1_sel:DWORD
	;; [unrolled: 3-line block ×3, first 2 shown]
	s_movk_i32 s2, 0x3964
	v_add_f16_e32 v67, v70, v67
	v_fma_f16 v70, v41, s6, -v103
	v_mul_f16_sdwa v104, v43, s21 dst_sel:DWORD dst_unused:UNUSED_PAD src0_sel:WORD_1 src1_sel:DWORD
	v_add_f16_e32 v67, v70, v67
	v_fma_f16 v70, v46, s17, -v104
	v_mul_f16_sdwa v105, v45, s2 dst_sel:DWORD dst_unused:UNUSED_PAD src0_sel:WORD_1 src1_sel:DWORD
	;; [unrolled: 3-line block ×3, first 2 shown]
	v_add_f16_e32 v67, v70, v67
	v_fma_f16 v70, v50, s16, -v106
	v_mul_f16_e32 v107, 0xba62, v31
	v_add_f16_e32 v67, v70, v67
	v_fma_f16 v70, v42, s14, v107
	v_mul_f16_e32 v108, 0x3bb2, v32
	v_add_f16_sdwa v70, v9, v70 dst_sel:DWORD dst_unused:UNUSED_PAD src0_sel:WORD_1 src1_sel:DWORD
	v_fma_f16 v109, v44, s16, v108
	v_add_f16_e32 v70, v109, v70
	v_mul_f16_e32 v109, 0xb5c8, v34
	v_fma_f16 v110, v47, s6, v109
	v_add_f16_e32 v70, v110, v70
	v_mul_f16_e32 v110, 0xb836, v38
	;; [unrolled: 3-line block ×6, first 2 shown]
	v_fma_f16 v115, v55, s11, v114
	v_add_f16_e32 v70, v115, v70
	v_mul_f16_sdwa v115, v31, s18 dst_sel:DWORD dst_unused:UNUSED_PAD src0_sel:WORD_1 src1_sel:DWORD
	v_fma_f16 v116, v33, s14, -v115
	v_mul_f16_sdwa v117, v32, s27 dst_sel:DWORD dst_unused:UNUSED_PAD src0_sel:WORD_1 src1_sel:DWORD
	v_add_f16_e32 v116, v9, v116
	v_fma_f16 v118, v36, s16, -v117
	v_add_f16_e32 v116, v118, v116
	v_mul_f16_sdwa v118, v34, s24 dst_sel:DWORD dst_unused:UNUSED_PAD src0_sel:WORD_1 src1_sel:DWORD
	v_fma_f16 v119, v37, s6, -v118
	v_add_f16_e32 v116, v119, v116
	v_mul_f16_sdwa v119, v38, s20 dst_sel:DWORD dst_unused:UNUSED_PAD src0_sel:WORD_1 src1_sel:DWORD
	s_movk_i32 s3, 0x3bf7
	v_fma_f16 v120, v40, s19, -v119
	v_add_f16_e32 v116, v120, v116
	v_mul_f16_sdwa v120, v39, s3 dst_sel:DWORD dst_unused:UNUSED_PAD src0_sel:WORD_1 src1_sel:DWORD
	v_fma_f16 v121, v41, s10, -v120
	v_add_f16_e32 v116, v121, v116
	v_mul_f16_sdwa v121, v43, s30 dst_sel:DWORD dst_unused:UNUSED_PAD src0_sel:WORD_1 src1_sel:DWORD
	v_pk_add_f16 v10, v9, v10
	v_fma_f16 v122, v46, s7, -v121
	v_pk_add_f16 v10, v10, v19
	v_mul_f16_sdwa v19, v45, s21 dst_sel:DWORD dst_unused:UNUSED_PAD src0_sel:WORD_1 src1_sel:DWORD
	v_add_f16_e32 v116, v122, v116
	v_pk_add_f16 v10, v10, v20
	v_fma_f16 v20, v48, s17, -v19
	v_add_f16_e32 v20, v20, v116
	v_mul_f16_sdwa v116, v49, s22 dst_sel:DWORD dst_unused:UNUSED_PAD src0_sel:WORD_1 src1_sel:DWORD
	v_fma_f16 v122, v50, s11, -v116
	v_pk_add_f16 v10, v10, v21
	v_mul_f16_e32 v21, 0xbbb2, v31
	v_add_f16_e32 v20, v122, v20
	v_pk_add_f16 v10, v10, v22
	v_fma_f16 v22, v42, s16, v21
	v_mul_f16_e32 v122, 0x3836, v32
	v_add_f16_sdwa v22, v9, v22 dst_sel:DWORD dst_unused:UNUSED_PAD src0_sel:WORD_1 src1_sel:DWORD
	v_fma_f16 v123, v44, s19, v122
	v_add_f16_e32 v22, v123, v22
	v_mul_f16_e32 v123, 0x3964, v34
	v_fma_f16 v124, v47, s7, v123
	v_add_f16_e32 v22, v124, v22
	v_mul_f16_e32 v124, 0xbb29, v38
	;; [unrolled: 3-line block ×6, first 2 shown]
	v_fma_f16 v129, v55, s14, v128
	v_add_f16_e32 v22, v129, v22
	v_mul_f16_sdwa v129, v31, s15 dst_sel:DWORD dst_unused:UNUSED_PAD src0_sel:WORD_1 src1_sel:DWORD
	v_fma_f16 v130, v33, s16, -v129
	v_mul_f16_sdwa v131, v32, s28 dst_sel:DWORD dst_unused:UNUSED_PAD src0_sel:WORD_1 src1_sel:DWORD
	v_add_f16_e32 v130, v9, v130
	v_fma_f16 v132, v36, s19, -v131
	v_add_f16_e32 v130, v132, v130
	v_mul_f16_sdwa v132, v34, s2 dst_sel:DWORD dst_unused:UNUSED_PAD src0_sel:WORD_1 src1_sel:DWORD
	v_fma_f16 v133, v37, s7, -v132
	v_add_f16_e32 v130, v133, v130
	v_mul_f16_sdwa v133, v38, s25 dst_sel:DWORD dst_unused:UNUSED_PAD src0_sel:WORD_1 src1_sel:DWORD
	;; [unrolled: 3-line block ×6, first 2 shown]
	v_fma_f16 v138, v50, s14, -v137
	v_add_f16_e32 v130, v138, v130
	v_mul_f16_e32 v138, 0xbbf7, v31
	v_fma_f16 v139, v42, s10, v138
	v_mul_f16_e32 v140, 0xb1e1, v32
	v_add_f16_sdwa v139, v9, v139 dst_sel:DWORD dst_unused:UNUSED_PAD src0_sel:WORD_1 src1_sel:DWORD
	v_fma_f16 v141, v44, s17, v140
	v_add_f16_e32 v139, v141, v139
	v_mul_f16_e32 v141, 0x3bb2, v34
	v_fma_f16 v142, v47, s16, v141
	v_add_f16_e32 v139, v142, v139
	v_mul_f16_e32 v142, 0x35c8, v38
	;; [unrolled: 3-line block ×6, first 2 shown]
	v_fma_f16 v147, v55, s7, v146
	v_add_f16_e32 v139, v147, v139
	v_mul_f16_sdwa v147, v31, s26 dst_sel:DWORD dst_unused:UNUSED_PAD src0_sel:WORD_1 src1_sel:DWORD
	v_fma_f16 v148, v33, s10, -v147
	v_mul_f16_sdwa v149, v32, s21 dst_sel:DWORD dst_unused:UNUSED_PAD src0_sel:WORD_1 src1_sel:DWORD
	v_add_f16_e32 v148, v9, v148
	v_fma_f16 v150, v36, s17, -v149
	v_add_f16_e32 v148, v150, v148
	v_mul_f16_sdwa v150, v34, s27 dst_sel:DWORD dst_unused:UNUSED_PAD src0_sel:WORD_1 src1_sel:DWORD
	v_fma_f16 v151, v37, s16, -v150
	v_add_f16_e32 v148, v151, v148
	v_mul_f16_sdwa v151, v38, s23 dst_sel:DWORD dst_unused:UNUSED_PAD src0_sel:WORD_1 src1_sel:DWORD
	;; [unrolled: 3-line block ×6, first 2 shown]
	v_fma_f16 v156, v50, s7, -v155
	v_add_f16_e32 v148, v156, v148
	v_mul_f16_e32 v156, 0xbb29, v31
	v_fma_f16 v157, v42, s11, v156
	v_mul_f16_e32 v158, 0xba62, v32
	v_add_f16_sdwa v157, v9, v157 dst_sel:DWORD dst_unused:UNUSED_PAD src0_sel:WORD_1 src1_sel:DWORD
	v_fma_f16 v159, v44, s14, v158
	v_add_f16_e32 v157, v159, v157
	v_mul_f16_e32 v159, 0x31e1, v34
	v_fma_f16 v160, v47, s17, v159
	v_add_f16_e32 v157, v160, v157
	v_mul_f16_e32 v160, 0x3bb2, v38
	;; [unrolled: 3-line block ×6, first 2 shown]
	v_fma_f16 v165, v55, s19, v164
	v_add_f16_e32 v157, v165, v157
	v_mul_f16_sdwa v165, v31, s25 dst_sel:DWORD dst_unused:UNUSED_PAD src0_sel:WORD_1 src1_sel:DWORD
	v_fma_f16 v166, v33, s11, -v165
	v_mul_f16_sdwa v167, v32, s18 dst_sel:DWORD dst_unused:UNUSED_PAD src0_sel:WORD_1 src1_sel:DWORD
	v_add_f16_e32 v166, v9, v166
	v_fma_f16 v168, v36, s14, -v167
	s_movk_i32 s25, 0x31e1
	v_add_f16_e32 v166, v168, v166
	v_mul_f16_sdwa v168, v34, s25 dst_sel:DWORD dst_unused:UNUSED_PAD src0_sel:WORD_1 src1_sel:DWORD
	v_fma_f16 v169, v37, s17, -v168
	v_add_f16_e32 v166, v169, v166
	v_mul_f16_sdwa v169, v38, s27 dst_sel:DWORD dst_unused:UNUSED_PAD src0_sel:WORD_1 src1_sel:DWORD
	v_fma_f16 v170, v40, s16, -v169
	;; [unrolled: 3-line block ×6, first 2 shown]
	v_add_f16_e32 v166, v174, v166
	v_mul_f16_e32 v174, 0x39e9, v42
	v_add_f16_e32 v59, v59, v174
	v_mul_f16_e32 v174, 0x2de8, v44
	v_add_f16_e32 v61, v61, v174
	v_add_f16_sdwa v59, v9, v59 dst_sel:DWORD dst_unused:UNUSED_PAD src0_sel:WORD_1 src1_sel:DWORD
	v_add_f16_e32 v59, v61, v59
	v_mul_f16_e32 v61, 0xb8d2, v47
	v_add_f16_e32 v61, v64, v61
	v_add_f16_e32 v59, v61, v59
	v_mul_f16_e32 v61, 0xbbdd, v51
	v_add_f16_e32 v61, v66, v61
	;; [unrolled: 3-line block ×6, first 2 shown]
	s_mov_b32 s24, 0xffff
	v_add_f16_e32 v59, v61, v59
	v_bfi_b32 v61, s24, v75, v74
	v_mul_f16_e32 v75, 0x3b76, v33
	v_sub_f16_e32 v56, v75, v56
	v_mul_f16_e32 v75, 0x39e9, v36
	v_sub_f16_e32 v57, v75, v57
	v_add_f16_e32 v56, v9, v56
	v_add_f16_e32 v56, v57, v56
	v_mul_f16_e32 v57, 0x3722, v37
	v_sub_f16_e32 v57, v57, v58
	v_add_f16_e32 v56, v57, v56
	v_mul_f16_e32 v57, 0x2de8, v40
	v_sub_f16_e32 v57, v57, v60
	;; [unrolled: 3-line block ×6, first 2 shown]
	v_add_f16_e32 v56, v57, v56
	v_fma_f16 v57, v42, s19, -v91
	v_add_f16_sdwa v57, v9, v57 dst_sel:DWORD dst_unused:UNUSED_PAD src0_sel:WORD_1 src1_sel:DWORD
	v_fma_f16 v58, v44, s11, -v92
	v_add_f16_e32 v57, v58, v57
	v_fma_f16 v58, v47, s10, -v93
	v_add_f16_e32 v57, v58, v57
	;; [unrolled: 2-line block ×7, first 2 shown]
	v_fma_f16 v58, v33, s19, v99
	v_add_f16_e32 v58, v9, v58
	v_fma_f16 v60, v36, s11, v100
	v_add_f16_e32 v58, v60, v58
	;; [unrolled: 2-line block ×8, first 2 shown]
	v_fma_f16 v60, v42, s14, -v107
	v_add_f16_sdwa v60, v9, v60 dst_sel:DWORD dst_unused:UNUSED_PAD src0_sel:WORD_1 src1_sel:DWORD
	v_fma_f16 v62, v44, s16, -v108
	v_add_f16_e32 v60, v62, v60
	v_fma_f16 v62, v47, s6, -v109
	v_add_f16_e32 v60, v62, v60
	;; [unrolled: 2-line block ×7, first 2 shown]
	v_fma_f16 v62, v33, s14, v115
	v_add_f16_e32 v62, v9, v62
	v_fma_f16 v65, v36, s16, v117
	v_add_f16_e32 v62, v65, v62
	;; [unrolled: 2-line block ×7, first 2 shown]
	v_fma_f16 v62, v50, s11, v116
	v_fma_f16 v21, v42, s16, -v21
	v_add_f16_e32 v19, v62, v19
	v_add_f16_sdwa v21, v9, v21 dst_sel:DWORD dst_unused:UNUSED_PAD src0_sel:WORD_1 src1_sel:DWORD
	v_fma_f16 v62, v44, s19, -v122
	v_add_f16_e32 v21, v62, v21
	v_fma_f16 v62, v47, s7, -v123
	v_add_f16_e32 v21, v62, v21
	;; [unrolled: 2-line block ×7, first 2 shown]
	v_fma_f16 v65, v33, s16, v129
	v_add_f16_e32 v65, v9, v65
	v_fma_f16 v68, v36, s19, v131
	v_add_f16_e32 v65, v68, v65
	v_fma_f16 v68, v37, s7, v132
	v_add_f16_e32 v65, v68, v65
	v_fma_f16 v68, v40, s11, v133
	v_add_f16_e32 v65, v68, v65
	v_fma_f16 v68, v41, s17, v134
	v_add_f16_e32 v65, v68, v65
	v_fma_f16 v68, v46, s10, v135
	v_add_f16_e32 v65, v68, v65
	v_fma_f16 v68, v48, s6, v136
	v_add_f16_e32 v65, v68, v65
	v_fma_f16 v68, v50, s14, v137
	v_pk_add_f16 v10, v10, v15
	v_add_f16_e32 v65, v68, v65
	v_fma_f16 v68, v42, s10, -v138
	v_fma_f16 v42, v42, s11, -v156
	v_pk_add_f16 v10, v10, v16
	v_add_f16_sdwa v68, v9, v68 dst_sel:DWORD dst_unused:UNUSED_PAD src0_sel:WORD_1 src1_sel:DWORD
	v_fma_f16 v75, v44, s17, -v140
	v_add_f16_sdwa v42, v9, v42 dst_sel:DWORD dst_unused:UNUSED_PAD src0_sel:WORD_1 src1_sel:DWORD
	v_fma_f16 v44, v44, s14, -v158
	v_pk_add_f16 v10, v10, v17
	v_add_f16_e32 v68, v75, v68
	v_fma_f16 v75, v47, s16, -v141
	v_add_f16_e32 v42, v44, v42
	v_fma_f16 v44, v47, s17, -v159
	v_pk_add_f16 v10, v10, v18
	v_add_f16_e32 v68, v75, v68
	v_fma_f16 v75, v51, s6, -v142
	v_add_f16_e32 v42, v44, v42
	;; [unrolled: 5-line block ×5, first 2 shown]
	v_fma_f16 v44, v54, s10, -v163
	v_pk_add_f16 v10, v10, v12
	v_alignbit_b32 v62, v9, v9, 16
	v_add_f16_e32 v68, v75, v68
	v_fma_f16 v75, v55, s7, -v146
	v_add_f16_e32 v42, v44, v42
	v_fma_f16 v44, v55, s19, -v164
	v_pk_add_f16 v6, v10, v6
	v_bfi_b32 v64, s24, v77, v76
	v_add_f16_e32 v68, v75, v68
	v_fma_f16 v75, v33, s10, v147
	v_add_f16_e32 v42, v44, v42
	v_fma_f16 v44, v33, s11, v165
	v_pk_add_f16 v6, v6, v7
	v_pk_add_f16 v7, v62, v61
	v_bfi_b32 v66, s24, v80, v79
	v_add_f16_e32 v75, v9, v75
	v_add_f16_e32 v9, v9, v44
	v_fma_f16 v44, v36, s14, v167
	v_pk_add_f16 v7, v64, v7
	v_bfi_b32 v69, s24, v82, v81
	v_add_f16_e32 v9, v44, v9
	v_fma_f16 v44, v37, s17, v168
	v_pk_add_f16 v7, v66, v7
	v_bfi_b32 v71, s24, v84, v83
	;; [unrolled: 4-line block ×5, first 2 shown]
	v_add_f16_e32 v9, v44, v9
	v_fma_f16 v44, v48, s10, v172
	v_pk_add_f16 v7, v73, v7
	v_add_f16_e32 v9, v44, v9
	v_fma_f16 v44, v50, s19, v173
	v_pk_add_f16 v7, v74, v7
	v_add_f16_e32 v9, v44, v9
	v_lshl_add_u32 v44, v0, 6, v25
	v_alignbit_b32 v10, v59, v7, 16
	v_pack_b32_f16 v7, v56, v7
	ds_write2_b32 v44, v7, v10 offset0:1 offset1:2
	v_pack_b32_f16 v7, v148, v139
	v_pack_b32_f16 v10, v166, v157
	ds_write2_b32 v44, v10, v7 offset0:3 offset1:4
	v_pack_b32_f16 v7, v20, v70
	v_pack_b32_f16 v10, v130, v22
	v_pk_add_f16 v6, v6, v35
	ds_write2_b32 v44, v10, v7 offset0:5 offset1:6
	v_pack_b32_f16 v7, v67, v63
	ds_write2_b32 v44, v6, v7 offset1:7
	v_pk_mul_f16 v6, v33, s17 op_sel_hi:[1,0]
	v_pk_fma_f16 v7, v31, s21, v6 op_sel:[0,0,1] op_sel_hi:[1,0,0] neg_lo:[1,0,0] neg_hi:[1,0,0]
	v_pk_mul_f16 v10, v36, s6 op_sel_hi:[1,0]
	v_pk_add_f16 v7, v62, v7
	v_pk_fma_f16 v11, v32, s23, v10 op_sel:[0,0,1] op_sel_hi:[1,0,0] neg_lo:[1,0,0] neg_hi:[1,0,0]
	v_pk_add_f16 v7, v11, v7
	v_pk_mul_f16 v11, v37, s19 op_sel_hi:[1,0]
	v_pk_fma_f16 v12, v34, s20, v11 op_sel:[0,0,1] op_sel_hi:[1,0,0] neg_lo:[1,0,0] neg_hi:[1,0,0]
	v_pk_add_f16 v7, v12, v7
	v_pk_mul_f16 v12, v40, s7 op_sel_hi:[1,0]
	;; [unrolled: 3-line block ×3, first 2 shown]
	v_pk_fma_f16 v6, v31, s21, v6 op_sel:[0,0,1] op_sel_hi:[1,0,0]
	v_pk_fma_f16 v14, v39, s18, v13 op_sel:[0,0,1] op_sel_hi:[1,0,0] neg_lo:[1,0,0] neg_hi:[1,0,0]
	v_pk_add_f16 v6, v62, v6
	v_pk_fma_f16 v10, v32, s23, v10 op_sel:[0,0,1] op_sel_hi:[1,0,0]
	v_pk_add_f16 v7, v14, v7
	v_pk_mul_f16 v14, v46, s11 op_sel_hi:[1,0]
	v_pk_add_f16 v6, v10, v6
	v_pk_fma_f16 v10, v34, s20, v11 op_sel:[0,0,1] op_sel_hi:[1,0,0]
	v_fma_f16 v76, v36, s17, v149
	v_pk_fma_f16 v15, v43, s22, v14 op_sel:[0,0,1] op_sel_hi:[1,0,0] neg_lo:[1,0,0] neg_hi:[1,0,0]
	v_pk_add_f16 v6, v10, v6
	v_pk_fma_f16 v10, v38, s2, v12 op_sel:[0,0,1] op_sel_hi:[1,0,0]
	v_add_f16_e32 v75, v76, v75
	v_fma_f16 v76, v37, s16, v150
	v_pk_add_f16 v7, v15, v7
	v_pk_mul_f16 v15, v48, s16 op_sel_hi:[1,0]
	v_pk_add_f16 v6, v10, v6
	v_pk_fma_f16 v10, v39, s18, v13 op_sel:[0,0,1] op_sel_hi:[1,0,0]
	v_add_f16_e32 v75, v76, v75
	v_fma_f16 v76, v40, s6, v151
	v_pk_fma_f16 v16, v45, s15, v15 op_sel:[0,0,1] op_sel_hi:[1,0,0] neg_lo:[1,0,0] neg_hi:[1,0,0]
	v_pk_add_f16 v6, v10, v6
	v_pk_fma_f16 v10, v43, s22, v14 op_sel:[0,0,1] op_sel_hi:[1,0,0]
	v_add_f16_e32 v75, v76, v75
	v_fma_f16 v76, v41, s11, v152
	v_pk_add_f16 v7, v16, v7
	v_pk_mul_f16 v16, v50, s10 op_sel_hi:[1,0]
	v_pk_add_f16 v6, v10, v6
	v_pk_fma_f16 v10, v45, s15, v15 op_sel:[0,0,1] op_sel_hi:[1,0,0]
	v_add_f16_e32 v75, v76, v75
	v_fma_f16 v76, v46, s19, v153
	v_pk_fma_f16 v17, v49, s3, v16 op_sel:[0,0,1] op_sel_hi:[1,0,0] neg_lo:[1,0,0] neg_hi:[1,0,0]
	v_pk_add_f16 v6, v10, v6
	v_pk_fma_f16 v10, v49, s3, v16 op_sel:[0,0,1] op_sel_hi:[1,0,0]
	v_add_f16_e32 v75, v76, v75
	v_fma_f16 v76, v48, s14, v154
	v_pk_add_f16 v7, v17, v7
	v_pk_add_f16 v6, v10, v6
	v_add_f16_e32 v75, v76, v75
	v_fma_f16 v76, v50, s7, v155
	v_alignbit_b32 v10, v7, v6, 16
	v_alignbit_b32 v6, v6, v7, 16
	v_add_f16_e32 v75, v76, v75
	ds_write2_b32 v44, v6, v10 offset0:8 offset1:9
	v_pack_b32_f16 v6, v19, v60
	v_pack_b32_f16 v7, v58, v57
	ds_write2_b32 v44, v7, v6 offset0:10 offset1:11
	v_pack_b32_f16 v6, v75, v68
	v_pack_b32_f16 v7, v65, v21
	s_mov_b32 s2, 0x5040100
	ds_write2_b32 v44, v7, v6 offset0:12 offset1:13
	v_pack_b32_f16 v6, v9, v42
	v_perm_b32 v7, v1, v8, s2
	ds_write2_b32 v44, v6, v7 offset0:14 offset1:15
	v_perm_b32 v6, v26, v5, s2
	ds_write_b32 v44, v6 offset:64
.LBB0_21:
	s_or_b64 exec, exec, s[4:5]
	v_add_u32_e32 v32, 0x66, v0
	s_movk_i32 s2, 0xf1
	v_add_u32_e32 v31, 0xcc, v0
	v_mul_lo_u16_sdwa v6, v0, s2 dst_sel:DWORD dst_unused:UNUSED_PAD src0_sel:BYTE_0 src1_sel:DWORD
	v_mul_lo_u16_sdwa v9, v32, s2 dst_sel:DWORD dst_unused:UNUSED_PAD src0_sel:BYTE_0 src1_sel:DWORD
	s_mov_b32 s2, 0xf0f1
	v_mul_u32_u24_sdwa v10, v31, s2 dst_sel:DWORD dst_unused:UNUSED_PAD src0_sel:WORD_0 src1_sel:DWORD
	v_add_u32_e32 v13, 0x132, v0
	v_lshrrev_b16_e32 v39, 12, v6
	v_lshrrev_b16_e32 v41, 12, v9
	v_lshrrev_b32_e32 v43, 20, v10
	v_mul_u32_u24_sdwa v14, v13, s2 dst_sel:DWORD dst_unused:UNUSED_PAD src0_sel:WORD_0 src1_sel:DWORD
	v_mul_lo_u16_e32 v6, 17, v39
	v_mul_lo_u16_e32 v9, 17, v41
	;; [unrolled: 1-line block ×3, first 2 shown]
	v_lshrrev_b32_e32 v45, 20, v14
	v_sub_u16_e32 v40, v0, v6
	v_mov_b32_e32 v6, 3
	v_sub_u16_e32 v42, v32, v9
	v_sub_u16_e32 v44, v31, v11
	v_mul_lo_u16_e32 v14, 17, v45
	v_lshlrev_b32_sdwa v7, v6, v40 dst_sel:DWORD dst_unused:UNUSED_PAD src0_sel:DWORD src1_sel:BYTE_0
	v_lshlrev_b32_sdwa v9, v6, v42 dst_sel:DWORD dst_unused:UNUSED_PAD src0_sel:DWORD src1_sel:BYTE_0
	v_lshlrev_b32_e32 v11, 3, v44
	v_sub_u16_e32 v46, v13, v14
	v_add_u32_e32 v15, 0x198, v0
	s_waitcnt lgkmcnt(0)
	s_barrier
	global_load_dwordx2 v[6:7], v7, s[8:9]
	v_lshlrev_b32_e32 v13, 3, v46
	global_load_dwordx2 v[9:10], v9, s[8:9]
	v_mul_u32_u24_sdwa v16, v15, s2 dst_sel:DWORD dst_unused:UNUSED_PAD src0_sel:WORD_0 src1_sel:DWORD
	global_load_dwordx2 v[11:12], v11, s[8:9]
	v_lshrrev_b32_e32 v47, 20, v16
	global_load_dwordx2 v[13:14], v13, s[8:9]
	v_mul_lo_u16_e32 v16, 17, v47
	v_sub_u16_e32 v48, v15, v16
	v_lshlrev_b32_e32 v15, 3, v48
	global_load_dwordx2 v[15:16], v15, s[8:9]
	ds_read2_b32 v[17:18], v25 offset1:102
	ds_read2_b32 v[19:20], v28 offset0:152 offset1:254
	v_add_u32_e32 v49, 0xe00, v25
	ds_read2_b32 v[21:22], v30 offset0:100 offset1:202
	ds_read2_b32 v[33:34], v24 offset0:76 offset1:178
	;; [unrolled: 1-line block ×4, first 2 shown]
	ds_read_b32 v30, v25 offset:5712
	ds_read2_b32 v[37:38], v49 offset0:124 offset1:226
	s_waitcnt lgkmcnt(5)
	v_lshrrev_b32_e32 v53, 16, v22
	s_waitcnt lgkmcnt(3)
	v_lshrrev_b32_e32 v57, 16, v36
	;; [unrolled: 2-line block ×3, first 2 shown]
	v_lshrrev_b32_e32 v59, 16, v29
	s_waitcnt lgkmcnt(1)
	v_lshrrev_b32_e32 v60, 16, v30
	v_lshrrev_b32_e32 v61, 16, v20
	s_waitcnt lgkmcnt(0)
	v_lshrrev_b32_e32 v63, 16, v37
	v_lshrrev_b32_e32 v54, 16, v35
	;; [unrolled: 1-line block ×4, first 2 shown]
	s_movk_i32 s5, 0x3aee
	s_mov_b32 s4, 0xbaee
	v_lshrrev_b32_e32 v64, 16, v38
	v_lshrrev_b32_e32 v51, 16, v18
	;; [unrolled: 1-line block ×5, first 2 shown]
	s_waitcnt vmcnt(0)
	s_barrier
	v_mul_f16_sdwa v65, v6, v61 dst_sel:DWORD dst_unused:UNUSED_PAD src0_sel:WORD_1 src1_sel:DWORD
	v_mul_f16_sdwa v66, v6, v20 dst_sel:DWORD dst_unused:UNUSED_PAD src0_sel:WORD_1 src1_sel:DWORD
	;; [unrolled: 1-line block ×3, first 2 shown]
	v_fma_f16 v20, v6, v20, -v65
	v_mul_f16_sdwa v73, v53, v11 dst_sel:DWORD dst_unused:UNUSED_PAD src0_sel:DWORD src1_sel:WORD_1
	v_mul_f16_sdwa v74, v22, v11 dst_sel:DWORD dst_unused:UNUSED_PAD src0_sel:DWORD src1_sel:WORD_1
	v_fma_f16 v22, v22, v11, -v73
	v_fma_f16 v11, v53, v11, v74
	v_mul_f16_sdwa v53, v56, v13 dst_sel:DWORD dst_unused:UNUSED_PAD src0_sel:DWORD src1_sel:WORD_1
	v_fma_f16 v53, v28, v13, -v53
	v_mul_f16_sdwa v28, v28, v13 dst_sel:DWORD dst_unused:UNUSED_PAD src0_sel:DWORD src1_sel:WORD_1
	v_fma_f16 v13, v56, v13, v28
	v_mul_f16_sdwa v28, v57, v14 dst_sel:DWORD dst_unused:UNUSED_PAD src0_sel:DWORD src1_sel:WORD_1
	v_fma_f16 v28, v36, v14, -v28
	v_mul_f16_sdwa v36, v36, v14 dst_sel:DWORD dst_unused:UNUSED_PAD src0_sel:DWORD src1_sel:WORD_1
	;; [unrolled: 4-line block ×4, first 2 shown]
	v_mul_f16_sdwa v68, v7, v37 dst_sel:DWORD dst_unused:UNUSED_PAD src0_sel:WORD_1 src1_sel:DWORD
	v_mul_f16_sdwa v75, v54, v12 dst_sel:DWORD dst_unused:UNUSED_PAD src0_sel:DWORD src1_sel:WORD_1
	v_mul_f16_sdwa v76, v35, v12 dst_sel:DWORD dst_unused:UNUSED_PAD src0_sel:DWORD src1_sel:WORD_1
	v_fma_f16 v37, v7, v37, -v67
	v_fma_f16 v16, v60, v16, v30
	v_add_f16_e32 v30, v17, v20
	v_fma_f16 v6, v6, v61, v66
	v_fma_f16 v7, v7, v63, v68
	v_fma_f16 v35, v35, v12, -v75
	v_fma_f16 v12, v54, v12, v76
	v_add_f16_e32 v54, v30, v37
	v_add_f16_e32 v30, v20, v37
	v_fma_f16 v17, v30, -0.5, v17
	v_sub_f16_e32 v30, v6, v7
	v_mul_f16_sdwa v69, v9, v62 dst_sel:DWORD dst_unused:UNUSED_PAD src0_sel:WORD_1 src1_sel:DWORD
	v_fma_f16 v56, v30, s5, v17
	v_fma_f16 v17, v30, s4, v17
	v_add_f16_e32 v30, v50, v6
	v_add_f16_e32 v6, v6, v7
	v_mul_f16_sdwa v70, v9, v21 dst_sel:DWORD dst_unused:UNUSED_PAD src0_sel:WORD_1 src1_sel:DWORD
	v_mul_f16_sdwa v71, v10, v64 dst_sel:DWORD dst_unused:UNUSED_PAD src0_sel:WORD_1 src1_sel:DWORD
	v_fma_f16 v21, v9, v21, -v69
	v_add_f16_e32 v57, v30, v7
	v_fma_f16 v6, v6, -0.5, v50
	v_sub_f16_e32 v7, v20, v37
	v_mul_f16_sdwa v72, v10, v38 dst_sel:DWORD dst_unused:UNUSED_PAD src0_sel:WORD_1 src1_sel:DWORD
	v_fma_f16 v38, v10, v38, -v71
	v_fma_f16 v20, v7, s4, v6
	v_fma_f16 v6, v7, s5, v6
	v_add_f16_e32 v7, v18, v21
	v_fma_f16 v9, v9, v62, v70
	v_fma_f16 v10, v10, v64, v72
	v_add_f16_e32 v37, v7, v38
	v_add_f16_e32 v7, v21, v38
	v_fma_f16 v7, v7, -0.5, v18
	v_sub_f16_e32 v18, v9, v10
	v_fma_f16 v50, v18, s5, v7
	v_fma_f16 v18, v18, s4, v7
	v_add_f16_e32 v7, v51, v9
	v_add_f16_e32 v59, v7, v10
	v_add_f16_e32 v7, v9, v10
	v_fma_f16 v7, v7, -0.5, v51
	v_sub_f16_e32 v9, v21, v38
	v_fma_f16 v21, v9, s4, v7
	v_fma_f16 v38, v9, s5, v7
	v_add_f16_e32 v7, v33, v22
	;; [unrolled: 7-line block ×7, first 2 shown]
	v_add_f16_e32 v15, v15, v16
	v_add_f16_e32 v28, v19, v16
	v_fma_f16 v15, v15, -0.5, v58
	v_sub_f16_e32 v16, v36, v29
	v_mov_b32_e32 v33, 2
	v_fma_f16 v29, v16, s4, v15
	v_fma_f16 v30, v16, s5, v15
	v_mul_u32_u24_e32 v15, 0xcc, v39
	v_lshlrev_b32_sdwa v16, v33, v40 dst_sel:DWORD dst_unused:UNUSED_PAD src0_sel:DWORD src1_sel:BYTE_0
	v_add3_u32 v15, 0, v15, v16
	v_pack_b32_f16 v16, v54, v57
	v_pack_b32_f16 v19, v56, v20
	;; [unrolled: 1-line block ×3, first 2 shown]
	ds_write2_b32 v15, v16, v19 offset1:17
	ds_write_b32 v15, v6 offset:136
	v_mul_u32_u24_e32 v6, 0xcc, v41
	v_lshlrev_b32_sdwa v15, v33, v42 dst_sel:DWORD dst_unused:UNUSED_PAD src0_sel:DWORD src1_sel:BYTE_0
	v_add3_u32 v6, 0, v6, v15
	v_pack_b32_f16 v15, v37, v59
	v_pack_b32_f16 v16, v50, v21
	ds_write2_b32 v6, v15, v16 offset1:17
	v_pack_b32_f16 v15, v18, v38
	ds_write_b32 v6, v15 offset:136
	v_mul_u32_u24_e32 v6, 0xcc, v43
	v_lshlrev_b32_e32 v15, 2, v44
	v_add3_u32 v6, 0, v6, v15
	v_pack_b32_f16 v15, v51, v62
	v_pack_b32_f16 v11, v60, v11
	ds_write2_b32 v6, v15, v11 offset1:17
	v_pack_b32_f16 v11, v61, v12
	ds_write_b32 v6, v11 offset:136
	v_mul_u32_u24_e32 v6, 0xcc, v45
	v_lshlrev_b32_e32 v11, 2, v46
	;; [unrolled: 8-line block ×3, first 2 shown]
	v_add3_u32 v6, 0, v6, v11
	v_pack_b32_f16 v11, v9, v28
	v_pack_b32_f16 v12, v10, v29
	ds_write2_b32 v6, v11, v12 offset1:17
	v_pack_b32_f16 v11, v7, v30
	ds_write_b32 v6, v11 offset:136
	v_add_u32_e32 v6, 0x600, v25
	s_waitcnt lgkmcnt(0)
	s_barrier
	ds_read2_b32 v[13:14], v25 offset1:102
	ds_read2_b32 v[15:16], v24 offset0:127 offset1:229
	ds_read2_b32 v[17:18], v6 offset0:126 offset1:228
	;; [unrolled: 1-line block ×5, first 2 shown]
                                        ; implicit-def: $vgpr27
	s_and_saveexec_b64 s[2:3], vcc
	s_cbranch_execz .LBB0_23
; %bb.22:
	v_add_u32_e32 v1, 0x330, v25
	ds_read2_b32 v[9:10], v1 offset1:255
	v_add_u32_e32 v1, 0xb28, v25
	ds_read2_b32 v[7:8], v1 offset1:255
	v_add_u32_e32 v1, 0x1320, v25
	ds_read2_b32 v[5:6], v1 offset1:255
	s_waitcnt lgkmcnt(2)
	v_lshrrev_b32_e32 v28, 16, v9
	v_lshrrev_b32_e32 v29, 16, v10
	s_waitcnt lgkmcnt(1)
	v_lshrrev_b32_e32 v30, 16, v7
	v_lshrrev_b32_e32 v1, 16, v8
	;; [unrolled: 3-line block ×3, first 2 shown]
.LBB0_23:
	s_or_b64 exec, exec, s[2:3]
	v_subrev_u32_e32 v11, 51, v0
	v_cndmask_b32_e32 v42, v11, v0, vcc
	v_mul_i32_i24_e32 v11, 5, v42
	v_mov_b32_e32 v12, 0
	v_lshlrev_b64 v[34:35], 2, v[11:12]
	v_mov_b32_e32 v11, s9
	v_add_co_u32_e64 v38, s[2:3], s8, v34
	v_addc_co_u32_e64 v39, s[2:3], v11, v35, s[2:3]
	s_movk_i32 s2, 0xa1
	global_load_dwordx4 v[34:37], v[38:39], off offset:136
	global_load_dword v11, v[38:39], off offset:152
	v_mul_lo_u16_sdwa v39, v32, s2 dst_sel:DWORD dst_unused:UNUSED_PAD src0_sel:BYTE_0 src1_sel:DWORD
	v_lshrrev_b16_e32 v43, 13, v39
	v_mul_lo_u16_e32 v39, 51, v43
	v_mov_b32_e32 v38, 5
	v_sub_u16_e32 v44, v32, v39
	v_mul_u32_u24_sdwa v38, v44, v38 dst_sel:DWORD dst_unused:UNUSED_PAD src0_sel:BYTE_0 src1_sel:DWORD
	v_lshlrev_b32_e32 v45, 2, v38
	global_load_dwordx4 v[38:41], v45, s[8:9] offset:136
	global_load_dword v46, v45, s[8:9] offset:152
	s_waitcnt lgkmcnt(4)
	v_lshrrev_b32_e32 v50, 16, v15
	s_waitcnt lgkmcnt(3)
	v_lshrrev_b32_e32 v51, 16, v17
	;; [unrolled: 2-line block ×3, first 2 shown]
	v_lshrrev_b32_e32 v52, 16, v19
	s_waitcnt lgkmcnt(0)
	v_lshrrev_b32_e32 v54, 16, v23
	v_lshrrev_b32_e32 v55, 16, v16
	;; [unrolled: 1-line block ×8, first 2 shown]
	v_cmp_lt_u32_e64 s[2:3], 50, v0
	s_waitcnt vmcnt(0)
	s_barrier
	v_mul_f16_sdwa v58, v34, v50 dst_sel:DWORD dst_unused:UNUSED_PAD src0_sel:WORD_1 src1_sel:DWORD
	v_mul_f16_sdwa v59, v34, v15 dst_sel:DWORD dst_unused:UNUSED_PAD src0_sel:WORD_1 src1_sel:DWORD
	;; [unrolled: 1-line block ×9, first 2 shown]
	v_fma_f16 v15, v34, v15, -v58
	v_fma_f16 v34, v34, v50, v59
	v_fma_f16 v17, v35, v17, -v60
	v_fma_f16 v35, v35, v51, v61
	;; [unrolled: 2-line block ×3, first 2 shown]
	v_mul_f16_sdwa v50, v38, v55 dst_sel:DWORD dst_unused:UNUSED_PAD src0_sel:WORD_1 src1_sel:DWORD
	v_mul_f16_sdwa v51, v38, v16 dst_sel:DWORD dst_unused:UNUSED_PAD src0_sel:WORD_1 src1_sel:DWORD
	;; [unrolled: 1-line block ×3, first 2 shown]
	v_fma_f16 v19, v36, v19, -v62
	v_fma_f16 v36, v36, v52, v63
	v_fma_f16 v23, v11, v23, -v66
	v_mul_f16_sdwa v52, v39, v56 dst_sel:DWORD dst_unused:UNUSED_PAD src0_sel:WORD_1 src1_sel:DWORD
	v_mul_f16_sdwa v53, v39, v18 dst_sel:DWORD dst_unused:UNUSED_PAD src0_sel:WORD_1 src1_sel:DWORD
	v_mul_f16_sdwa v59, v48, v41 dst_sel:DWORD dst_unused:UNUSED_PAD src0_sel:DWORD src1_sel:WORD_1
	v_mul_f16_sdwa v60, v22, v41 dst_sel:DWORD dst_unused:UNUSED_PAD src0_sel:DWORD src1_sel:WORD_1
	;; [unrolled: 1-line block ×4, first 2 shown]
	v_fma_f16 v16, v38, v16, -v50
	v_fma_f16 v38, v38, v55, v51
	v_sub_f16_e32 v50, v35, v37
	v_add_f16_e32 v51, v45, v35
	v_add_f16_e32 v35, v35, v37
	v_fma_f16 v11, v11, v54, v67
	v_fma_f16 v18, v39, v18, -v52
	v_fma_f16 v39, v39, v56, v53
	v_fma_f16 v22, v22, v41, -v59
	;; [unrolled: 2-line block ×3, first 2 shown]
	v_fma_f16 v46, v49, v46, v62
	v_add_f16_e32 v48, v13, v17
	v_add_f16_e32 v49, v17, v21
	v_sub_f16_e32 v17, v17, v21
	v_add_f16_e32 v53, v19, v23
	v_fma_f16 v35, v35, -0.5, v45
	v_add_f16_e32 v52, v15, v19
	v_fma_f16 v13, v49, -0.5, v13
	v_fma_f16 v49, v17, s4, v35
	v_fma_f16 v17, v17, s5, v35
	v_fma_f16 v15, v53, -0.5, v15
	v_sub_f16_e32 v35, v36, v11
	v_add_f16_e32 v21, v48, v21
	v_fma_f16 v48, v50, s5, v13
	v_fma_f16 v13, v50, s4, v13
	v_fma_f16 v50, v35, s5, v15
	v_fma_f16 v15, v35, s4, v15
	v_add_f16_e32 v35, v34, v36
	v_add_f16_e32 v35, v35, v11
	;; [unrolled: 1-line block ×3, first 2 shown]
	v_fma_f16 v11, v11, -0.5, v34
	v_sub_f16_e32 v19, v19, v23
	v_add_f16_e32 v37, v51, v37
	v_add_f16_e32 v45, v52, v23
	v_fma_f16 v23, v19, s4, v11
	v_fma_f16 v11, v19, s5, v11
	v_mul_f16_e32 v51, -0.5, v15
	v_fma_f16 v51, v11, s5, v51
	v_mul_f16_e32 v11, -0.5, v11
	v_add_f16_e32 v53, v37, v35
	v_fma_f16 v11, v15, s4, v11
	v_sub_f16_e32 v35, v37, v35
	v_add_f16_e32 v37, v18, v22
	v_mul_f16_sdwa v54, v40, v57 dst_sel:DWORD dst_unused:UNUSED_PAD src0_sel:WORD_1 src1_sel:DWORD
	v_add_f16_e32 v15, v17, v11
	v_sub_f16_e32 v11, v17, v11
	v_add_f16_e32 v17, v14, v18
	v_fma_f16 v14, v37, -0.5, v14
	v_sub_f16_e32 v37, v39, v41
	v_mul_f16_sdwa v58, v40, v20 dst_sel:DWORD dst_unused:UNUSED_PAD src0_sel:WORD_1 src1_sel:DWORD
	v_fma_f16 v20, v40, v20, -v54
	v_add_f16_e32 v19, v21, v45
	v_sub_f16_e32 v21, v21, v45
	v_fma_f16 v45, v37, s5, v14
	v_fma_f16 v14, v37, s4, v14
	v_add_f16_e32 v37, v47, v39
	v_add_f16_e32 v39, v39, v41
	v_fma_f16 v40, v40, v57, v58
	v_add_f16_e32 v37, v37, v41
	v_fma_f16 v39, v39, -0.5, v47
	v_sub_f16_e32 v18, v18, v22
	v_add_f16_e32 v41, v20, v24
	v_add_f16_e32 v17, v17, v22
	v_fma_f16 v22, v18, s4, v39
	v_fma_f16 v18, v18, s5, v39
	v_add_f16_e32 v39, v16, v20
	v_fma_f16 v16, v41, -0.5, v16
	v_sub_f16_e32 v41, v40, v46
	v_mul_f16_e32 v34, 0x3aee, v23
	v_fma_f16 v47, v41, s5, v16
	v_fma_f16 v16, v41, s4, v16
	v_add_f16_e32 v41, v38, v40
	v_add_f16_e32 v40, v40, v46
	v_fma_f16 v34, v50, 0.5, v34
	v_fma_f16 v38, v40, -0.5, v38
	v_sub_f16_e32 v20, v20, v24
	v_add_f16_e32 v36, v48, v34
	v_sub_f16_e32 v34, v48, v34
	v_add_f16_e32 v39, v39, v24
	v_fma_f16 v24, v20, s4, v38
	v_fma_f16 v20, v20, s5, v38
	v_mul_f16_e32 v48, -0.5, v16
	v_mul_f16_e32 v40, 0x3aee, v24
	v_fma_f16 v48, v20, s5, v48
	v_mul_f16_e32 v20, -0.5, v20
	v_mul_f16_e32 v50, 0xbaee, v50
	v_fma_f16 v40, v47, 0.5, v40
	v_mul_f16_e32 v47, 0xbaee, v47
	v_fma_f16 v16, v16, s4, v20
	v_fma_f16 v23, v23, 0.5, v50
	v_fma_f16 v24, v24, 0.5, v47
	v_add_f16_e32 v20, v18, v16
	v_sub_f16_e32 v16, v18, v16
	v_mov_b32_e32 v18, 0x4c8
	v_add_f16_e32 v50, v49, v23
	v_add_f16_e32 v47, v22, v24
	v_sub_f16_e32 v22, v22, v24
	v_cndmask_b32_e64 v18, 0, v18, s[2:3]
	v_lshlrev_b32_e32 v24, 2, v42
	v_add_f16_e32 v52, v13, v51
	v_add3_u32 v18, 0, v18, v24
	v_pack_b32_f16 v19, v19, v53
	v_pack_b32_f16 v24, v36, v50
	v_sub_f16_e32 v13, v13, v51
	v_sub_f16_e32 v23, v49, v23
	ds_write2_b32 v18, v19, v24 offset1:51
	v_pack_b32_f16 v15, v52, v15
	v_pack_b32_f16 v19, v21, v35
	v_add_f16_e32 v41, v41, v46
	ds_write2_b32 v18, v15, v19 offset0:102 offset1:153
	v_pack_b32_f16 v15, v34, v23
	v_pack_b32_f16 v11, v13, v11
	v_add_f16_e32 v38, v17, v39
	v_add_f16_e32 v46, v45, v40
	v_add_f16_e32 v51, v37, v41
	ds_write2_b32 v18, v15, v11 offset0:204 offset1:255
	v_mul_u32_u24_e32 v11, 0x4c8, v43
	v_lshlrev_b32_sdwa v13, v33, v44 dst_sel:DWORD dst_unused:UNUSED_PAD src0_sel:DWORD src1_sel:BYTE_0
	v_add_f16_e32 v49, v14, v48
	v_sub_f16_e32 v17, v17, v39
	v_sub_f16_e32 v37, v37, v41
	v_add3_u32 v11, 0, v11, v13
	v_pack_b32_f16 v13, v38, v51
	v_pack_b32_f16 v15, v46, v47
	v_sub_f16_e32 v39, v45, v40
	v_sub_f16_e32 v14, v14, v48
	ds_write2_b32 v11, v13, v15 offset1:51
	v_pack_b32_f16 v13, v49, v20
	v_pack_b32_f16 v15, v17, v37
	ds_write2_b32 v11, v13, v15 offset0:102 offset1:153
	v_pack_b32_f16 v13, v39, v22
	v_pack_b32_f16 v14, v14, v16
	ds_write2_b32 v11, v13, v14 offset0:204 offset1:255
	s_and_saveexec_b64 s[2:3], vcc
	s_cbranch_execz .LBB0_25
; %bb.24:
	s_mov_b32 s4, 0xa0a1
	v_mul_u32_u24_sdwa v11, v31, s4 dst_sel:DWORD dst_unused:UNUSED_PAD src0_sel:WORD_0 src1_sel:DWORD
	v_lshrrev_b32_e32 v11, 21, v11
	v_mul_lo_u16_e32 v11, 51, v11
	v_sub_u16_e32 v11, v31, v11
	v_mul_u32_u24_e32 v13, 5, v11
	v_lshlrev_b32_e32 v17, 2, v13
	global_load_dwordx4 v[13:16], v17, s[8:9] offset:136
	global_load_dword v18, v17, s[8:9] offset:152
	s_movk_i32 s4, 0x3aee
	s_mov_b32 s5, 0xbaee
	v_lshl_add_u32 v11, v11, 2, 0
	v_add_u32_e32 v17, 0x1000, v11
	v_add_u32_e32 v11, 0x1400, v11
	s_waitcnt vmcnt(1)
	v_mul_f16_sdwa v24, v1, v15 dst_sel:DWORD dst_unused:UNUSED_PAD src0_sel:DWORD src1_sel:WORD_1
	s_waitcnt vmcnt(0)
	v_mul_f16_sdwa v33, v27, v18 dst_sel:DWORD dst_unused:UNUSED_PAD src0_sel:DWORD src1_sel:WORD_1
	v_mul_f16_sdwa v34, v8, v15 dst_sel:DWORD dst_unused:UNUSED_PAD src0_sel:DWORD src1_sel:WORD_1
	;; [unrolled: 1-line block ×9, first 2 shown]
	v_fma_f16 v8, v8, v15, -v24
	v_fma_f16 v6, v6, v18, -v33
	v_fma_f16 v1, v1, v15, v34
	v_fma_f16 v15, v27, v18, v35
	v_fma_f16 v7, v7, v14, -v19
	v_fma_f16 v5, v5, v16, -v20
	v_fma_f16 v14, v30, v14, v21
	v_fma_f16 v16, v26, v16, v22
	v_fma_f16 v10, v10, v13, -v23
	v_fma_f16 v13, v29, v13, v36
	v_add_f16_e32 v20, v8, v6
	v_add_f16_e32 v23, v1, v15
	v_sub_f16_e32 v18, v7, v5
	v_add_f16_e32 v19, v14, v16
	v_sub_f16_e32 v21, v1, v15
	v_sub_f16_e32 v22, v8, v6
	v_add_f16_e32 v24, v28, v14
	v_add_f16_e32 v1, v13, v1
	;; [unrolled: 1-line block ×5, first 2 shown]
	v_fma_f16 v10, v20, -0.5, v10
	v_fma_f16 v13, v23, -0.5, v13
	v_sub_f16_e32 v14, v14, v16
	v_fma_f16 v19, v19, -0.5, v28
	v_add_f16_e32 v16, v24, v16
	v_add_f16_e32 v1, v1, v15
	v_fma_f16 v9, v26, -0.5, v9
	v_add_f16_e32 v5, v7, v5
	v_add_f16_e32 v6, v8, v6
	v_fma_f16 v8, v21, s5, v10
	v_fma_f16 v15, v22, s4, v13
	;; [unrolled: 1-line block ×6, first 2 shown]
	v_sub_f16_e32 v19, v16, v1
	v_fma_f16 v20, v14, s5, v9
	v_fma_f16 v9, v14, s4, v9
	v_sub_f16_e32 v14, v5, v6
	v_add_f16_e32 v1, v16, v1
	v_add_f16_e32 v5, v5, v6
	v_mul_f16_e32 v6, -0.5, v15
	v_mul_f16_e32 v16, 0xbaee, v10
	v_mul_f16_e32 v22, 0x3aee, v13
	v_mul_f16_e32 v21, -0.5, v8
	v_fma_f16 v6, v8, s5, v6
	v_fma_f16 v8, v13, 0.5, v16
	v_fma_f16 v10, v10, 0.5, v22
	v_pack_b32_f16 v1, v5, v1
	v_pack_b32_f16 v5, v14, v19
	v_fma_f16 v13, v15, s4, v21
	v_sub_f16_e32 v14, v7, v6
	v_sub_f16_e32 v19, v9, v10
	v_add_f16_e32 v6, v7, v6
	v_add_f16_e32 v7, v18, v8
	;; [unrolled: 1-line block ×3, first 2 shown]
	v_sub_f16_e32 v15, v18, v8
	v_sub_f16_e32 v16, v20, v13
	v_add_f16_e32 v8, v20, v13
	v_pack_b32_f16 v7, v9, v7
	v_pack_b32_f16 v6, v8, v6
	;; [unrolled: 1-line block ×4, first 2 shown]
	ds_write2_b32 v17, v1, v7 offset0:200 offset1:251
	ds_write2_b32 v11, v6, v5 offset0:46 offset1:97
	;; [unrolled: 1-line block ×3, first 2 shown]
.LBB0_25:
	s_or_b64 exec, exec, s[2:3]
	v_mov_b32_e32 v5, v12
	v_lshlrev_b64 v[4:5], 2, v[4:5]
	v_lshlrev_b32_e32 v11, 2, v32
	v_mov_b32_e32 v1, s9
	v_add_co_u32_e32 v4, vcc, s8, v4
	v_lshlrev_b64 v[8:9], 2, v[11:12]
	v_addc_co_u32_e32 v5, vcc, v1, v5, vcc
	v_add_co_u32_e32 v8, vcc, s8, v8
	v_addc_co_u32_e32 v9, vcc, v1, v9, vcc
	v_lshlrev_b32_e32 v11, 2, v31
	s_waitcnt lgkmcnt(0)
	s_barrier
	global_load_dwordx4 v[4:7], v[4:5], off offset:1156
	ds_read2_b32 v[17:18], v25 offset1:102
	global_load_dwordx4 v[13:16], v[8:9], off offset:1156
	v_lshlrev_b64 v[8:9], 2, v[11:12]
	v_add_u32_e32 v12, 0x800, v25
	v_add_co_u32_e32 v8, vcc, s8, v8
	v_addc_co_u32_e32 v9, vcc, v1, v9, vcc
	global_load_dwordx4 v[8:11], v[8:9], off offset:1156
	v_add_u32_e32 v1, 0x200, v25
	v_add_u32_e32 v32, 0xc00, v25
	;; [unrolled: 1-line block ×5, first 2 shown]
	ds_read_u16 v36, v25 offset:1634
	ds_read_b32 v37, v25 offset:5712
	ds_read2_b32 v[19:20], v1 offset0:76 offset1:178
	ds_read2_b32 v[21:22], v12 offset0:100 offset1:202
	;; [unrolled: 1-line block ×6, first 2 shown]
	s_waitcnt lgkmcnt(6)
	v_lshrrev_b32_e32 v40, 16, v37
	s_waitcnt lgkmcnt(3)
	v_lshrrev_b32_e32 v46, 16, v23
	v_lshrrev_b32_e32 v49, 16, v21
	s_waitcnt lgkmcnt(1)
	v_lshrrev_b32_e32 v45, 16, v29
	s_waitcnt lgkmcnt(0)
	v_lshrrev_b32_e32 v47, 16, v31
	v_lshrrev_b32_e32 v50, 16, v24
	v_lshrrev_b32_e32 v48, 16, v20
	v_lshrrev_b32_e32 v51, 16, v26
	v_lshrrev_b32_e32 v41, 16, v22
	v_lshrrev_b32_e32 v42, 16, v30
	v_lshrrev_b32_e32 v43, 16, v27
	s_movk_i32 s2, 0x3b9c
	s_mov_b32 s5, 0xbb9c
	s_movk_i32 s3, 0x38b4
	s_mov_b32 s6, 0xb8b4
	s_movk_i32 s4, 0x34f2
	v_lshrrev_b32_e32 v38, 16, v17
	v_lshrrev_b32_e32 v39, 16, v18
	;; [unrolled: 1-line block ×3, first 2 shown]
	s_waitcnt vmcnt(0)
	s_barrier
	v_mul_f16_sdwa v54, v5, v49 dst_sel:DWORD dst_unused:UNUSED_PAD src0_sel:WORD_1 src1_sel:DWORD
	v_mul_f16_sdwa v56, v6, v50 dst_sel:DWORD dst_unused:UNUSED_PAD src0_sel:WORD_1 src1_sel:DWORD
	v_mul_f16_sdwa v60, v36, v13 dst_sel:DWORD dst_unused:UNUSED_PAD src0_sel:DWORD src1_sel:WORD_1
	v_mul_f16_sdwa v61, v13, v28 dst_sel:DWORD dst_unused:UNUSED_PAD src0_sel:WORD_1 src1_sel:DWORD
	v_fma_f16 v28, v13, v28, -v60
	v_fma_f16 v13, v36, v13, v61
	v_mul_f16_sdwa v52, v4, v48 dst_sel:DWORD dst_unused:UNUSED_PAD src0_sel:WORD_1 src1_sel:DWORD
	v_mul_f16_sdwa v53, v4, v20 dst_sel:DWORD dst_unused:UNUSED_PAD src0_sel:WORD_1 src1_sel:DWORD
	;; [unrolled: 1-line block ×3, first 2 shown]
	v_mul_f16_sdwa v36, v45, v8 dst_sel:DWORD dst_unused:UNUSED_PAD src0_sel:DWORD src1_sel:WORD_1
	v_fma_f16 v36, v29, v8, -v36
	v_mul_f16_sdwa v29, v29, v8 dst_sel:DWORD dst_unused:UNUSED_PAD src0_sel:DWORD src1_sel:WORD_1
	v_fma_f16 v8, v45, v8, v29
	v_mul_f16_sdwa v29, v46, v9 dst_sel:DWORD dst_unused:UNUSED_PAD src0_sel:DWORD src1_sel:WORD_1
	v_fma_f16 v29, v23, v9, -v29
	v_mul_f16_sdwa v23, v23, v9 dst_sel:DWORD dst_unused:UNUSED_PAD src0_sel:DWORD src1_sel:WORD_1
	v_fma_f16 v9, v46, v9, v23
	;; [unrolled: 4-line block ×3, first 2 shown]
	v_mul_f16_sdwa v31, v40, v11 dst_sel:DWORD dst_unused:UNUSED_PAD src0_sel:DWORD src1_sel:WORD_1
	v_mul_f16_sdwa v57, v6, v24 dst_sel:DWORD dst_unused:UNUSED_PAD src0_sel:WORD_1 src1_sel:DWORD
	v_mul_f16_sdwa v58, v7, v51 dst_sel:DWORD dst_unused:UNUSED_PAD src0_sel:WORD_1 src1_sel:DWORD
	v_mul_f16_sdwa v59, v7, v26 dst_sel:DWORD dst_unused:UNUSED_PAD src0_sel:WORD_1 src1_sel:DWORD
	v_fma_f16 v21, v5, v21, -v54
	v_fma_f16 v24, v6, v24, -v56
	;; [unrolled: 1-line block ×3, first 2 shown]
	v_mul_f16_sdwa v37, v37, v11 dst_sel:DWORD dst_unused:UNUSED_PAD src0_sel:DWORD src1_sel:WORD_1
	v_mul_f16_sdwa v62, v41, v14 dst_sel:DWORD dst_unused:UNUSED_PAD src0_sel:DWORD src1_sel:WORD_1
	;; [unrolled: 1-line block ×3, first 2 shown]
	v_fma_f16 v20, v4, v20, -v52
	v_fma_f16 v4, v4, v48, v53
	v_fma_f16 v26, v7, v26, -v58
	v_fma_f16 v7, v7, v51, v59
	v_fma_f16 v11, v40, v11, v37
	v_add_f16_e32 v40, v21, v24
	v_mul_f16_sdwa v64, v42, v15 dst_sel:DWORD dst_unused:UNUSED_PAD src0_sel:DWORD src1_sel:WORD_1
	v_mul_f16_sdwa v65, v30, v15 dst_sel:DWORD dst_unused:UNUSED_PAD src0_sel:DWORD src1_sel:WORD_1
	v_mul_f16_sdwa v66, v43, v16 dst_sel:DWORD dst_unused:UNUSED_PAD src0_sel:DWORD src1_sel:WORD_1
	v_mul_f16_sdwa v67, v27, v16 dst_sel:DWORD dst_unused:UNUSED_PAD src0_sel:DWORD src1_sel:WORD_1
	v_fma_f16 v5, v5, v49, v55
	v_fma_f16 v6, v6, v50, v57
	v_fma_f16 v22, v22, v14, -v62
	v_fma_f16 v14, v41, v14, v63
	v_fma_f16 v40, v40, -0.5, v17
	v_sub_f16_e32 v41, v4, v7
	v_fma_f16 v30, v30, v15, -v64
	v_fma_f16 v15, v42, v15, v65
	v_fma_f16 v27, v27, v16, -v66
	v_fma_f16 v16, v43, v16, v67
	v_fma_f16 v42, v41, s2, v40
	v_sub_f16_e32 v43, v5, v6
	v_sub_f16_e32 v45, v20, v21
	;; [unrolled: 1-line block ×3, first 2 shown]
	v_fma_f16 v40, v41, s5, v40
	v_fma_f16 v42, v43, s3, v42
	v_add_f16_e32 v45, v45, v46
	v_fma_f16 v40, v43, s6, v40
	v_fma_f16 v42, v45, s4, v42
	;; [unrolled: 1-line block ×3, first 2 shown]
	v_add_f16_e32 v45, v20, v26
	v_add_f16_e32 v37, v17, v20
	v_fma_f16 v17, v45, -0.5, v17
	v_add_f16_e32 v37, v37, v21
	v_fma_f16 v45, v43, s5, v17
	v_fma_f16 v17, v43, s2, v17
	v_add_f16_e32 v43, v5, v6
	v_add_f16_e32 v37, v37, v24
	v_sub_f16_e32 v46, v21, v20
	v_sub_f16_e32 v47, v24, v26
	v_fma_f16 v43, v43, -0.5, v38
	v_sub_f16_e32 v20, v20, v26
	v_add_f16_e32 v37, v37, v26
	v_fma_f16 v45, v41, s3, v45
	v_add_f16_e32 v46, v46, v47
	v_fma_f16 v17, v41, s6, v17
	v_fma_f16 v26, v20, s5, v43
	v_sub_f16_e32 v21, v21, v24
	v_fma_f16 v45, v46, s4, v45
	v_fma_f16 v17, v46, s4, v17
	v_fma_f16 v24, v21, s6, v26
	v_sub_f16_e32 v26, v4, v5
	v_sub_f16_e32 v46, v7, v6
	v_fma_f16 v43, v20, s2, v43
	v_add_f16_e32 v41, v38, v4
	v_add_f16_e32 v26, v26, v46
	v_fma_f16 v43, v21, s3, v43
	v_add_f16_e32 v41, v41, v5
	v_fma_f16 v24, v26, s4, v24
	v_fma_f16 v26, v26, s4, v43
	v_add_f16_e32 v43, v4, v7
	v_add_f16_e32 v41, v41, v6
	v_fma_f16 v38, v43, -0.5, v38
	v_add_f16_e32 v41, v41, v7
	v_fma_f16 v43, v21, s2, v38
	v_sub_f16_e32 v4, v5, v4
	v_sub_f16_e32 v5, v6, v7
	v_fma_f16 v6, v21, s5, v38
	v_add_f16_e32 v7, v22, v30
	v_fma_f16 v43, v20, s6, v43
	v_add_f16_e32 v4, v4, v5
	v_fma_f16 v6, v20, s3, v6
	v_fma_f16 v7, v7, -0.5, v18
	v_sub_f16_e32 v20, v13, v16
	v_fma_f16 v5, v4, s4, v43
	v_fma_f16 v21, v20, s2, v7
	v_sub_f16_e32 v38, v14, v15
	v_sub_f16_e32 v43, v28, v22
	;; [unrolled: 1-line block ×3, first 2 shown]
	v_fma_f16 v7, v20, s5, v7
	v_fma_f16 v21, v38, s3, v21
	v_add_f16_e32 v43, v43, v46
	v_fma_f16 v7, v38, s6, v7
	v_fma_f16 v4, v4, s4, v6
	v_add_f16_e32 v6, v18, v28
	;; [unrolled: 3-line block ×3, first 2 shown]
	v_add_f16_e32 v6, v6, v22
	v_fma_f16 v18, v43, -0.5, v18
	v_add_f16_e32 v6, v6, v30
	v_fma_f16 v43, v38, s5, v18
	v_sub_f16_e32 v46, v22, v28
	v_sub_f16_e32 v47, v30, v27
	v_fma_f16 v18, v38, s2, v18
	v_add_f16_e32 v38, v14, v15
	v_add_f16_e32 v6, v6, v27
	v_fma_f16 v43, v20, s3, v43
	v_add_f16_e32 v46, v46, v47
	v_fma_f16 v18, v20, s6, v18
	v_fma_f16 v38, v38, -0.5, v39
	v_sub_f16_e32 v27, v28, v27
	v_fma_f16 v43, v46, s4, v43
	v_fma_f16 v18, v46, s4, v18
	;; [unrolled: 1-line block ×3, first 2 shown]
	v_sub_f16_e32 v22, v22, v30
	v_sub_f16_e32 v30, v13, v14
	;; [unrolled: 1-line block ×3, first 2 shown]
	v_fma_f16 v38, v27, s2, v38
	v_add_f16_e32 v20, v39, v13
	v_fma_f16 v28, v22, s6, v28
	v_add_f16_e32 v30, v30, v46
	;; [unrolled: 2-line block ×3, first 2 shown]
	v_fma_f16 v28, v30, s4, v28
	v_fma_f16 v30, v30, s4, v38
	v_add_f16_e32 v38, v13, v16
	v_add_f16_e32 v20, v20, v15
	v_fma_f16 v38, v38, -0.5, v39
	v_add_f16_e32 v20, v20, v16
	v_fma_f16 v39, v22, s2, v38
	v_sub_f16_e32 v13, v14, v13
	v_sub_f16_e32 v14, v15, v16
	v_add_f16_e32 v16, v29, v23
	v_fma_f16 v39, v27, s6, v39
	v_add_f16_e32 v13, v13, v14
	v_fma_f16 v15, v22, s5, v38
	v_fma_f16 v16, v16, -0.5, v19
	v_sub_f16_e32 v22, v8, v11
	v_fma_f16 v14, v13, s4, v39
	v_fma_f16 v15, v27, s3, v15
	;; [unrolled: 1-line block ×3, first 2 shown]
	v_sub_f16_e32 v38, v9, v10
	v_sub_f16_e32 v39, v36, v29
	;; [unrolled: 1-line block ×3, first 2 shown]
	v_fma_f16 v16, v22, s5, v16
	v_fma_f16 v27, v38, s3, v27
	v_add_f16_e32 v39, v39, v46
	v_fma_f16 v16, v38, s6, v16
	v_fma_f16 v13, v13, s4, v15
	v_add_f16_e32 v15, v19, v36
	;; [unrolled: 3-line block ×3, first 2 shown]
	v_add_f16_e32 v15, v15, v29
	v_fma_f16 v19, v39, -0.5, v19
	v_add_f16_e32 v15, v15, v23
	v_fma_f16 v39, v38, s5, v19
	v_fma_f16 v19, v38, s2, v19
	v_add_f16_e32 v38, v9, v10
	v_add_f16_e32 v15, v15, v31
	v_sub_f16_e32 v46, v29, v36
	v_sub_f16_e32 v47, v23, v31
	v_fma_f16 v38, v38, -0.5, v44
	v_sub_f16_e32 v31, v36, v31
	v_fma_f16 v39, v22, s3, v39
	v_add_f16_e32 v46, v46, v47
	v_fma_f16 v19, v22, s6, v19
	v_fma_f16 v36, v31, s5, v38
	v_sub_f16_e32 v23, v29, v23
	v_fma_f16 v39, v46, s4, v39
	v_fma_f16 v19, v46, s4, v19
	;; [unrolled: 1-line block ×3, first 2 shown]
	v_sub_f16_e32 v36, v8, v9
	v_sub_f16_e32 v46, v11, v10
	v_fma_f16 v38, v31, s2, v38
	v_add_f16_e32 v36, v36, v46
	v_fma_f16 v38, v23, s3, v38
	v_add_f16_e32 v22, v44, v8
	v_fma_f16 v29, v36, s4, v29
	v_fma_f16 v36, v36, s4, v38
	v_add_f16_e32 v38, v8, v11
	v_add_f16_e32 v22, v22, v9
	v_fma_f16 v38, v38, -0.5, v44
	v_add_f16_e32 v22, v22, v10
	v_fma_f16 v44, v23, s2, v38
	v_sub_f16_e32 v8, v9, v8
	v_sub_f16_e32 v9, v10, v11
	v_fma_f16 v10, v23, s5, v38
	v_add_f16_e32 v22, v22, v11
	v_fma_f16 v44, v31, s6, v44
	v_add_f16_e32 v8, v8, v9
	v_fma_f16 v10, v31, s3, v10
	v_pack_b32_f16 v4, v17, v4
	v_pack_b32_f16 v17, v40, v26
	;; [unrolled: 1-line block ×3, first 2 shown]
	v_fma_f16 v9, v8, s4, v44
	v_fma_f16 v8, v8, s4, v10
	v_pack_b32_f16 v10, v37, v41
	v_pack_b32_f16 v11, v42, v24
	;; [unrolled: 1-line block ×3, first 2 shown]
	ds_write2_b32 v33, v17, v7 offset0:72 offset1:174
	v_pack_b32_f16 v7, v15, v22
	ds_write2_b32 v25, v10, v6 offset1:102
	v_pack_b32_f16 v6, v21, v28
	ds_write2_b32 v1, v7, v11 offset0:76 offset1:178
	v_pack_b32_f16 v1, v27, v29
	v_pack_b32_f16 v5, v45, v5
	;; [unrolled: 1-line block ×3, first 2 shown]
	ds_write2_b32 v34, v6, v1 offset0:152 offset1:254
	v_pack_b32_f16 v1, v39, v9
	ds_write2_b32 v12, v5, v10 offset0:100 offset1:202
	v_pack_b32_f16 v5, v18, v13
	;; [unrolled: 2-line block ×4, first 2 shown]
	ds_write_b32 v25, v1 offset:5712
	s_waitcnt lgkmcnt(0)
	s_barrier
	s_and_saveexec_b64 s[2:3], s[0:1]
	s_cbranch_execz .LBB0_27
; %bb.26:
	v_lshl_add_u32 v6, v0, 2, 0
	v_mov_b32_e32 v1, 0
	ds_read2_b32 v[4:5], v6 offset1:102
	v_mov_b32_e32 v7, s13
	v_add_co_u32_e32 v8, vcc, s12, v2
	v_addc_co_u32_e32 v7, vcc, v7, v3, vcc
	v_lshlrev_b64 v[2:3], 2, v[0:1]
	v_add_co_u32_e32 v2, vcc, v8, v2
	v_addc_co_u32_e32 v3, vcc, v7, v3, vcc
	s_waitcnt lgkmcnt(0)
	global_store_dword v[2:3], v4, off
	v_add_u32_e32 v2, 0x66, v0
	v_mov_b32_e32 v3, v1
	v_lshlrev_b64 v[2:3], 2, v[2:3]
	v_add_u32_e32 v4, 0x200, v6
	v_add_co_u32_e32 v2, vcc, v8, v2
	v_addc_co_u32_e32 v3, vcc, v7, v3, vcc
	global_store_dword v[2:3], v5, off
	v_add_u32_e32 v2, 0xcc, v0
	v_mov_b32_e32 v3, v1
	ds_read2_b32 v[4:5], v4 offset0:76 offset1:178
	v_lshlrev_b64 v[2:3], 2, v[2:3]
	v_add_co_u32_e32 v2, vcc, v8, v2
	v_addc_co_u32_e32 v3, vcc, v7, v3, vcc
	s_waitcnt lgkmcnt(0)
	global_store_dword v[2:3], v4, off
	v_add_u32_e32 v2, 0x132, v0
	v_mov_b32_e32 v3, v1
	v_lshlrev_b64 v[2:3], 2, v[2:3]
	v_add_u32_e32 v4, 0x400, v6
	v_add_co_u32_e32 v2, vcc, v8, v2
	v_addc_co_u32_e32 v3, vcc, v7, v3, vcc
	global_store_dword v[2:3], v5, off
	v_add_u32_e32 v2, 0x198, v0
	v_mov_b32_e32 v3, v1
	ds_read2_b32 v[4:5], v4 offset0:152 offset1:254
	;; [unrolled: 15-line block ×6, first 2 shown]
	v_lshlrev_b64 v[2:3], 2, v[2:3]
	v_add_co_u32_e32 v2, vcc, v8, v2
	v_addc_co_u32_e32 v3, vcc, v7, v3, vcc
	s_waitcnt lgkmcnt(0)
	global_store_dword v[2:3], v4, off
	v_add_u32_e32 v2, 0x52e, v0
	v_mov_b32_e32 v3, v1
	v_lshlrev_b64 v[2:3], 2, v[2:3]
	v_add_u32_e32 v0, 0x594, v0
	v_add_co_u32_e32 v2, vcc, v8, v2
	v_addc_co_u32_e32 v3, vcc, v7, v3, vcc
	global_store_dword v[2:3], v5, off
	ds_read_b32 v2, v6 offset:5712
	v_lshlrev_b64 v[0:1], 2, v[0:1]
	v_add_co_u32_e32 v0, vcc, v8, v0
	v_addc_co_u32_e32 v1, vcc, v7, v1, vcc
	s_waitcnt lgkmcnt(0)
	global_store_dword v[0:1], v2, off
.LBB0_27:
	s_endpgm
	.section	.rodata,"a",@progbits
	.p2align	6, 0x0
	.amdhsa_kernel fft_rtc_fwd_len1530_factors_17_3_6_5_wgs_102_tpt_102_halfLds_half_ip_CI_unitstride_sbrr_C2R_dirReg
		.amdhsa_group_segment_fixed_size 0
		.amdhsa_private_segment_fixed_size 0
		.amdhsa_kernarg_size 88
		.amdhsa_user_sgpr_count 6
		.amdhsa_user_sgpr_private_segment_buffer 1
		.amdhsa_user_sgpr_dispatch_ptr 0
		.amdhsa_user_sgpr_queue_ptr 0
		.amdhsa_user_sgpr_kernarg_segment_ptr 1
		.amdhsa_user_sgpr_dispatch_id 0
		.amdhsa_user_sgpr_flat_scratch_init 0
		.amdhsa_user_sgpr_private_segment_size 0
		.amdhsa_uses_dynamic_stack 0
		.amdhsa_system_sgpr_private_segment_wavefront_offset 0
		.amdhsa_system_sgpr_workgroup_id_x 1
		.amdhsa_system_sgpr_workgroup_id_y 0
		.amdhsa_system_sgpr_workgroup_id_z 0
		.amdhsa_system_sgpr_workgroup_info 0
		.amdhsa_system_vgpr_workitem_id 0
		.amdhsa_next_free_vgpr 175
		.amdhsa_next_free_sgpr 31
		.amdhsa_reserve_vcc 1
		.amdhsa_reserve_flat_scratch 0
		.amdhsa_float_round_mode_32 0
		.amdhsa_float_round_mode_16_64 0
		.amdhsa_float_denorm_mode_32 3
		.amdhsa_float_denorm_mode_16_64 3
		.amdhsa_dx10_clamp 1
		.amdhsa_ieee_mode 1
		.amdhsa_fp16_overflow 0
		.amdhsa_exception_fp_ieee_invalid_op 0
		.amdhsa_exception_fp_denorm_src 0
		.amdhsa_exception_fp_ieee_div_zero 0
		.amdhsa_exception_fp_ieee_overflow 0
		.amdhsa_exception_fp_ieee_underflow 0
		.amdhsa_exception_fp_ieee_inexact 0
		.amdhsa_exception_int_div_zero 0
	.end_amdhsa_kernel
	.text
.Lfunc_end0:
	.size	fft_rtc_fwd_len1530_factors_17_3_6_5_wgs_102_tpt_102_halfLds_half_ip_CI_unitstride_sbrr_C2R_dirReg, .Lfunc_end0-fft_rtc_fwd_len1530_factors_17_3_6_5_wgs_102_tpt_102_halfLds_half_ip_CI_unitstride_sbrr_C2R_dirReg
                                        ; -- End function
	.section	.AMDGPU.csdata,"",@progbits
; Kernel info:
; codeLenInByte = 13908
; NumSgprs: 35
; NumVgprs: 175
; ScratchSize: 0
; MemoryBound: 0
; FloatMode: 240
; IeeeMode: 1
; LDSByteSize: 0 bytes/workgroup (compile time only)
; SGPRBlocks: 4
; VGPRBlocks: 43
; NumSGPRsForWavesPerEU: 35
; NumVGPRsForWavesPerEU: 175
; Occupancy: 1
; WaveLimiterHint : 1
; COMPUTE_PGM_RSRC2:SCRATCH_EN: 0
; COMPUTE_PGM_RSRC2:USER_SGPR: 6
; COMPUTE_PGM_RSRC2:TRAP_HANDLER: 0
; COMPUTE_PGM_RSRC2:TGID_X_EN: 1
; COMPUTE_PGM_RSRC2:TGID_Y_EN: 0
; COMPUTE_PGM_RSRC2:TGID_Z_EN: 0
; COMPUTE_PGM_RSRC2:TIDIG_COMP_CNT: 0
	.type	__hip_cuid_9240bec5e894eadd,@object ; @__hip_cuid_9240bec5e894eadd
	.section	.bss,"aw",@nobits
	.globl	__hip_cuid_9240bec5e894eadd
__hip_cuid_9240bec5e894eadd:
	.byte	0                               ; 0x0
	.size	__hip_cuid_9240bec5e894eadd, 1

	.ident	"AMD clang version 19.0.0git (https://github.com/RadeonOpenCompute/llvm-project roc-6.4.0 25133 c7fe45cf4b819c5991fe208aaa96edf142730f1d)"
	.section	".note.GNU-stack","",@progbits
	.addrsig
	.addrsig_sym __hip_cuid_9240bec5e894eadd
	.amdgpu_metadata
---
amdhsa.kernels:
  - .args:
      - .actual_access:  read_only
        .address_space:  global
        .offset:         0
        .size:           8
        .value_kind:     global_buffer
      - .offset:         8
        .size:           8
        .value_kind:     by_value
      - .actual_access:  read_only
        .address_space:  global
        .offset:         16
        .size:           8
        .value_kind:     global_buffer
      - .actual_access:  read_only
        .address_space:  global
        .offset:         24
        .size:           8
        .value_kind:     global_buffer
      - .offset:         32
        .size:           8
        .value_kind:     by_value
      - .actual_access:  read_only
        .address_space:  global
        .offset:         40
        .size:           8
        .value_kind:     global_buffer
      - .actual_access:  read_only
        .address_space:  global
        .offset:         48
        .size:           8
        .value_kind:     global_buffer
      - .offset:         56
        .size:           4
        .value_kind:     by_value
      - .actual_access:  read_only
        .address_space:  global
        .offset:         64
        .size:           8
        .value_kind:     global_buffer
      - .actual_access:  read_only
        .address_space:  global
        .offset:         72
        .size:           8
        .value_kind:     global_buffer
      - .address_space:  global
        .offset:         80
        .size:           8
        .value_kind:     global_buffer
    .group_segment_fixed_size: 0
    .kernarg_segment_align: 8
    .kernarg_segment_size: 88
    .language:       OpenCL C
    .language_version:
      - 2
      - 0
    .max_flat_workgroup_size: 102
    .name:           fft_rtc_fwd_len1530_factors_17_3_6_5_wgs_102_tpt_102_halfLds_half_ip_CI_unitstride_sbrr_C2R_dirReg
    .private_segment_fixed_size: 0
    .sgpr_count:     35
    .sgpr_spill_count: 0
    .symbol:         fft_rtc_fwd_len1530_factors_17_3_6_5_wgs_102_tpt_102_halfLds_half_ip_CI_unitstride_sbrr_C2R_dirReg.kd
    .uniform_work_group_size: 1
    .uses_dynamic_stack: false
    .vgpr_count:     175
    .vgpr_spill_count: 0
    .wavefront_size: 64
amdhsa.target:   amdgcn-amd-amdhsa--gfx906
amdhsa.version:
  - 1
  - 2
...

	.end_amdgpu_metadata
